;; amdgpu-corpus repo=ROCm/rocFFT kind=compiled arch=gfx1201 opt=O3
	.text
	.amdgcn_target "amdgcn-amd-amdhsa--gfx1201"
	.amdhsa_code_object_version 6
	.protected	fft_rtc_fwd_len630_factors_3_3_5_7_2_wgs_63_tpt_63_halfLds_dp_ip_CI_sbrr_dirReg ; -- Begin function fft_rtc_fwd_len630_factors_3_3_5_7_2_wgs_63_tpt_63_halfLds_dp_ip_CI_sbrr_dirReg
	.globl	fft_rtc_fwd_len630_factors_3_3_5_7_2_wgs_63_tpt_63_halfLds_dp_ip_CI_sbrr_dirReg
	.p2align	8
	.type	fft_rtc_fwd_len630_factors_3_3_5_7_2_wgs_63_tpt_63_halfLds_dp_ip_CI_sbrr_dirReg,@function
fft_rtc_fwd_len630_factors_3_3_5_7_2_wgs_63_tpt_63_halfLds_dp_ip_CI_sbrr_dirReg: ; @fft_rtc_fwd_len630_factors_3_3_5_7_2_wgs_63_tpt_63_halfLds_dp_ip_CI_sbrr_dirReg
; %bb.0:
	s_clause 0x2
	s_load_b64 s[12:13], s[0:1], 0x18
	s_load_b128 s[4:7], s[0:1], 0x0
	s_load_b64 s[10:11], s[0:1], 0x50
	v_mul_u32_u24_e32 v1, 0x411, v0
	v_mov_b32_e32 v3, 0
	s_delay_alu instid0(VALU_DEP_2) | instskip(NEXT) | instid1(VALU_DEP_1)
	v_lshrrev_b32_e32 v1, 16, v1
	v_add_nc_u32_e32 v5, ttmp9, v1
	v_mov_b32_e32 v1, 0
	v_mov_b32_e32 v2, 0
	;; [unrolled: 1-line block ×3, first 2 shown]
	s_wait_kmcnt 0x0
	s_load_b64 s[8:9], s[12:13], 0x0
	v_cmp_lt_u64_e64 s2, s[6:7], 2
	s_delay_alu instid0(VALU_DEP_1)
	s_and_b32 vcc_lo, exec_lo, s2
	s_cbranch_vccnz .LBB0_8
; %bb.1:
	s_load_b64 s[2:3], s[0:1], 0x10
	v_mov_b32_e32 v1, 0
	v_mov_b32_e32 v2, 0
	s_add_nc_u64 s[14:15], s[12:13], 8
	s_mov_b64 s[16:17], 1
	s_wait_kmcnt 0x0
	s_add_nc_u64 s[18:19], s[2:3], 8
	s_mov_b32 s3, 0
.LBB0_2:                                ; =>This Inner Loop Header: Depth=1
	s_load_b64 s[20:21], s[18:19], 0x0
                                        ; implicit-def: $vgpr7_vgpr8
	s_mov_b32 s2, exec_lo
	s_wait_kmcnt 0x0
	v_or_b32_e32 v4, s21, v6
	s_delay_alu instid0(VALU_DEP_1)
	v_cmpx_ne_u64_e32 0, v[3:4]
	s_wait_alu 0xfffe
	s_xor_b32 s22, exec_lo, s2
	s_cbranch_execz .LBB0_4
; %bb.3:                                ;   in Loop: Header=BB0_2 Depth=1
	s_cvt_f32_u32 s2, s20
	s_cvt_f32_u32 s23, s21
	s_sub_nc_u64 s[26:27], 0, s[20:21]
	s_wait_alu 0xfffe
	s_delay_alu instid0(SALU_CYCLE_1) | instskip(SKIP_1) | instid1(SALU_CYCLE_2)
	s_fmamk_f32 s2, s23, 0x4f800000, s2
	s_wait_alu 0xfffe
	v_s_rcp_f32 s2, s2
	s_delay_alu instid0(TRANS32_DEP_1) | instskip(SKIP_1) | instid1(SALU_CYCLE_2)
	s_mul_f32 s2, s2, 0x5f7ffffc
	s_wait_alu 0xfffe
	s_mul_f32 s23, s2, 0x2f800000
	s_wait_alu 0xfffe
	s_delay_alu instid0(SALU_CYCLE_2) | instskip(SKIP_1) | instid1(SALU_CYCLE_2)
	s_trunc_f32 s23, s23
	s_wait_alu 0xfffe
	s_fmamk_f32 s2, s23, 0xcf800000, s2
	s_cvt_u32_f32 s25, s23
	s_wait_alu 0xfffe
	s_delay_alu instid0(SALU_CYCLE_1) | instskip(SKIP_1) | instid1(SALU_CYCLE_2)
	s_cvt_u32_f32 s24, s2
	s_wait_alu 0xfffe
	s_mul_u64 s[28:29], s[26:27], s[24:25]
	s_wait_alu 0xfffe
	s_mul_hi_u32 s31, s24, s29
	s_mul_i32 s30, s24, s29
	s_mul_hi_u32 s2, s24, s28
	s_mul_i32 s33, s25, s28
	s_wait_alu 0xfffe
	s_add_nc_u64 s[30:31], s[2:3], s[30:31]
	s_mul_hi_u32 s23, s25, s28
	s_mul_hi_u32 s34, s25, s29
	s_add_co_u32 s2, s30, s33
	s_wait_alu 0xfffe
	s_add_co_ci_u32 s2, s31, s23
	s_mul_i32 s28, s25, s29
	s_add_co_ci_u32 s29, s34, 0
	s_wait_alu 0xfffe
	s_add_nc_u64 s[28:29], s[2:3], s[28:29]
	s_wait_alu 0xfffe
	v_add_co_u32 v4, s2, s24, s28
	s_delay_alu instid0(VALU_DEP_1) | instskip(SKIP_1) | instid1(VALU_DEP_1)
	s_cmp_lg_u32 s2, 0
	s_add_co_ci_u32 s25, s25, s29
	v_readfirstlane_b32 s24, v4
	s_wait_alu 0xfffe
	s_delay_alu instid0(VALU_DEP_1)
	s_mul_u64 s[26:27], s[26:27], s[24:25]
	s_wait_alu 0xfffe
	s_mul_hi_u32 s29, s24, s27
	s_mul_i32 s28, s24, s27
	s_mul_hi_u32 s2, s24, s26
	s_mul_i32 s30, s25, s26
	s_wait_alu 0xfffe
	s_add_nc_u64 s[28:29], s[2:3], s[28:29]
	s_mul_hi_u32 s23, s25, s26
	s_mul_hi_u32 s24, s25, s27
	s_wait_alu 0xfffe
	s_add_co_u32 s2, s28, s30
	s_add_co_ci_u32 s2, s29, s23
	s_mul_i32 s26, s25, s27
	s_add_co_ci_u32 s27, s24, 0
	s_wait_alu 0xfffe
	s_add_nc_u64 s[26:27], s[2:3], s[26:27]
	s_wait_alu 0xfffe
	v_add_co_u32 v4, s2, v4, s26
	s_delay_alu instid0(VALU_DEP_1) | instskip(SKIP_1) | instid1(VALU_DEP_1)
	s_cmp_lg_u32 s2, 0
	s_add_co_ci_u32 s2, s25, s27
	v_mul_hi_u32 v13, v5, v4
	s_wait_alu 0xfffe
	v_mad_co_u64_u32 v[7:8], null, v5, s2, 0
	v_mad_co_u64_u32 v[9:10], null, v6, v4, 0
	;; [unrolled: 1-line block ×3, first 2 shown]
	s_delay_alu instid0(VALU_DEP_3) | instskip(SKIP_1) | instid1(VALU_DEP_4)
	v_add_co_u32 v4, vcc_lo, v13, v7
	s_wait_alu 0xfffd
	v_add_co_ci_u32_e32 v7, vcc_lo, 0, v8, vcc_lo
	s_delay_alu instid0(VALU_DEP_2) | instskip(SKIP_1) | instid1(VALU_DEP_2)
	v_add_co_u32 v4, vcc_lo, v4, v9
	s_wait_alu 0xfffd
	v_add_co_ci_u32_e32 v4, vcc_lo, v7, v10, vcc_lo
	s_wait_alu 0xfffd
	v_add_co_ci_u32_e32 v7, vcc_lo, 0, v12, vcc_lo
	s_delay_alu instid0(VALU_DEP_2) | instskip(SKIP_1) | instid1(VALU_DEP_2)
	v_add_co_u32 v4, vcc_lo, v4, v11
	s_wait_alu 0xfffd
	v_add_co_ci_u32_e32 v9, vcc_lo, 0, v7, vcc_lo
	s_delay_alu instid0(VALU_DEP_2) | instskip(SKIP_1) | instid1(VALU_DEP_3)
	v_mul_lo_u32 v10, s21, v4
	v_mad_co_u64_u32 v[7:8], null, s20, v4, 0
	v_mul_lo_u32 v11, s20, v9
	s_delay_alu instid0(VALU_DEP_2) | instskip(NEXT) | instid1(VALU_DEP_2)
	v_sub_co_u32 v7, vcc_lo, v5, v7
	v_add3_u32 v8, v8, v11, v10
	s_delay_alu instid0(VALU_DEP_1) | instskip(SKIP_1) | instid1(VALU_DEP_1)
	v_sub_nc_u32_e32 v10, v6, v8
	s_wait_alu 0xfffd
	v_subrev_co_ci_u32_e64 v10, s2, s21, v10, vcc_lo
	v_add_co_u32 v11, s2, v4, 2
	s_wait_alu 0xf1ff
	v_add_co_ci_u32_e64 v12, s2, 0, v9, s2
	v_sub_co_u32 v13, s2, v7, s20
	v_sub_co_ci_u32_e32 v8, vcc_lo, v6, v8, vcc_lo
	s_wait_alu 0xf1ff
	v_subrev_co_ci_u32_e64 v10, s2, 0, v10, s2
	s_delay_alu instid0(VALU_DEP_3) | instskip(NEXT) | instid1(VALU_DEP_3)
	v_cmp_le_u32_e32 vcc_lo, s20, v13
	v_cmp_eq_u32_e64 s2, s21, v8
	s_wait_alu 0xfffd
	v_cndmask_b32_e64 v13, 0, -1, vcc_lo
	v_cmp_le_u32_e32 vcc_lo, s21, v10
	s_wait_alu 0xfffd
	v_cndmask_b32_e64 v14, 0, -1, vcc_lo
	v_cmp_le_u32_e32 vcc_lo, s20, v7
	;; [unrolled: 3-line block ×3, first 2 shown]
	s_wait_alu 0xfffd
	v_cndmask_b32_e64 v15, 0, -1, vcc_lo
	v_cmp_eq_u32_e32 vcc_lo, s21, v10
	s_wait_alu 0xf1ff
	s_delay_alu instid0(VALU_DEP_2)
	v_cndmask_b32_e64 v7, v15, v7, s2
	s_wait_alu 0xfffd
	v_cndmask_b32_e32 v10, v14, v13, vcc_lo
	v_add_co_u32 v13, vcc_lo, v4, 1
	s_wait_alu 0xfffd
	v_add_co_ci_u32_e32 v14, vcc_lo, 0, v9, vcc_lo
	s_delay_alu instid0(VALU_DEP_3) | instskip(SKIP_2) | instid1(VALU_DEP_3)
	v_cmp_ne_u32_e32 vcc_lo, 0, v10
	s_wait_alu 0xfffd
	v_cndmask_b32_e32 v10, v13, v11, vcc_lo
	v_cndmask_b32_e32 v8, v14, v12, vcc_lo
	v_cmp_ne_u32_e32 vcc_lo, 0, v7
	s_wait_alu 0xfffd
	s_delay_alu instid0(VALU_DEP_2)
	v_dual_cndmask_b32 v7, v4, v10 :: v_dual_cndmask_b32 v8, v9, v8
.LBB0_4:                                ;   in Loop: Header=BB0_2 Depth=1
	s_wait_alu 0xfffe
	s_and_not1_saveexec_b32 s2, s22
	s_cbranch_execz .LBB0_6
; %bb.5:                                ;   in Loop: Header=BB0_2 Depth=1
	v_cvt_f32_u32_e32 v4, s20
	s_sub_co_i32 s22, 0, s20
	s_delay_alu instid0(VALU_DEP_1) | instskip(NEXT) | instid1(TRANS32_DEP_1)
	v_rcp_iflag_f32_e32 v4, v4
	v_mul_f32_e32 v4, 0x4f7ffffe, v4
	s_delay_alu instid0(VALU_DEP_1) | instskip(SKIP_1) | instid1(VALU_DEP_1)
	v_cvt_u32_f32_e32 v4, v4
	s_wait_alu 0xfffe
	v_mul_lo_u32 v7, s22, v4
	s_delay_alu instid0(VALU_DEP_1) | instskip(NEXT) | instid1(VALU_DEP_1)
	v_mul_hi_u32 v7, v4, v7
	v_add_nc_u32_e32 v4, v4, v7
	s_delay_alu instid0(VALU_DEP_1) | instskip(NEXT) | instid1(VALU_DEP_1)
	v_mul_hi_u32 v4, v5, v4
	v_mul_lo_u32 v7, v4, s20
	v_add_nc_u32_e32 v8, 1, v4
	s_delay_alu instid0(VALU_DEP_2) | instskip(NEXT) | instid1(VALU_DEP_1)
	v_sub_nc_u32_e32 v7, v5, v7
	v_subrev_nc_u32_e32 v9, s20, v7
	v_cmp_le_u32_e32 vcc_lo, s20, v7
	s_wait_alu 0xfffd
	s_delay_alu instid0(VALU_DEP_2) | instskip(NEXT) | instid1(VALU_DEP_1)
	v_dual_cndmask_b32 v7, v7, v9 :: v_dual_cndmask_b32 v4, v4, v8
	v_cmp_le_u32_e32 vcc_lo, s20, v7
	s_delay_alu instid0(VALU_DEP_2) | instskip(SKIP_1) | instid1(VALU_DEP_1)
	v_add_nc_u32_e32 v8, 1, v4
	s_wait_alu 0xfffd
	v_dual_cndmask_b32 v7, v4, v8 :: v_dual_mov_b32 v8, v3
.LBB0_6:                                ;   in Loop: Header=BB0_2 Depth=1
	s_wait_alu 0xfffe
	s_or_b32 exec_lo, exec_lo, s2
	s_load_b64 s[22:23], s[14:15], 0x0
	s_delay_alu instid0(VALU_DEP_1)
	v_mul_lo_u32 v4, v8, s20
	v_mul_lo_u32 v11, v7, s21
	v_mad_co_u64_u32 v[9:10], null, v7, s20, 0
	s_add_nc_u64 s[16:17], s[16:17], 1
	s_add_nc_u64 s[14:15], s[14:15], 8
	s_wait_alu 0xfffe
	v_cmp_ge_u64_e64 s2, s[16:17], s[6:7]
	s_add_nc_u64 s[18:19], s[18:19], 8
	s_delay_alu instid0(VALU_DEP_2) | instskip(NEXT) | instid1(VALU_DEP_3)
	v_add3_u32 v4, v10, v11, v4
	v_sub_co_u32 v5, vcc_lo, v5, v9
	s_wait_alu 0xfffd
	s_delay_alu instid0(VALU_DEP_2) | instskip(SKIP_3) | instid1(VALU_DEP_2)
	v_sub_co_ci_u32_e32 v4, vcc_lo, v6, v4, vcc_lo
	s_and_b32 vcc_lo, exec_lo, s2
	s_wait_kmcnt 0x0
	v_mul_lo_u32 v6, s23, v5
	v_mul_lo_u32 v4, s22, v4
	v_mad_co_u64_u32 v[1:2], null, s22, v5, v[1:2]
	s_delay_alu instid0(VALU_DEP_1)
	v_add3_u32 v2, v6, v2, v4
	s_wait_alu 0xfffe
	s_cbranch_vccnz .LBB0_9
; %bb.7:                                ;   in Loop: Header=BB0_2 Depth=1
	v_dual_mov_b32 v5, v7 :: v_dual_mov_b32 v6, v8
	s_branch .LBB0_2
.LBB0_8:
	v_dual_mov_b32 v8, v6 :: v_dual_mov_b32 v7, v5
.LBB0_9:
	s_lshl_b64 s[2:3], s[6:7], 3
	v_mul_hi_u32 v3, 0x4104105, v0
	s_wait_alu 0xfffe
	s_add_nc_u64 s[2:3], s[12:13], s[2:3]
                                        ; implicit-def: $vgpr66
                                        ; implicit-def: $vgpr68
	s_load_b64 s[2:3], s[2:3], 0x0
	s_load_b64 s[0:1], s[0:1], 0x20
	s_delay_alu instid0(VALU_DEP_1) | instskip(NEXT) | instid1(VALU_DEP_1)
	v_mul_u32_u24_e32 v3, 63, v3
	v_sub_nc_u32_e32 v62, v0, v3
	s_delay_alu instid0(VALU_DEP_1)
	v_add_nc_u32_e32 v77, 63, v62
	v_add_nc_u32_e32 v78, 0x7e, v62
	s_wait_kmcnt 0x0
	v_mul_lo_u32 v4, s2, v8
	v_mul_lo_u32 v5, s3, v7
	v_mad_co_u64_u32 v[1:2], null, s2, v7, v[1:2]
	v_cmp_gt_u64_e32 vcc_lo, s[0:1], v[7:8]
	v_cmp_le_u64_e64 s0, s[0:1], v[7:8]
	s_delay_alu instid0(VALU_DEP_3) | instskip(NEXT) | instid1(VALU_DEP_2)
	v_add3_u32 v2, v5, v2, v4
	s_and_saveexec_b32 s1, s0
	s_wait_alu 0xfffe
	s_xor_b32 s0, exec_lo, s1
; %bb.10:
	v_add_nc_u32_e32 v66, 63, v62
	v_add_nc_u32_e32 v68, 0x7e, v62
; %bb.11:
	s_wait_alu 0xfffe
	s_or_saveexec_b32 s1, s0
	v_lshlrev_b64_e32 v[64:65], 4, v[1:2]
                                        ; implicit-def: $vgpr50_vgpr51
                                        ; implicit-def: $vgpr60_vgpr61
                                        ; implicit-def: $vgpr56_vgpr57
                                        ; implicit-def: $vgpr26_vgpr27
                                        ; implicit-def: $vgpr34_vgpr35
                                        ; implicit-def: $vgpr30_vgpr31
                                        ; implicit-def: $vgpr22_vgpr23
                                        ; implicit-def: $vgpr38_vgpr39
                                        ; implicit-def: $vgpr18_vgpr19
                                        ; implicit-def: $vgpr14_vgpr15
                                        ; implicit-def: $vgpr10_vgpr11
                                        ; implicit-def: $vgpr2_vgpr3
	s_wait_alu 0xfffe
	s_xor_b32 exec_lo, exec_lo, s1
	s_cbranch_execz .LBB0_15
; %bb.12:
	v_add_nc_u32_e32 v8, 0xd2, v62
	v_mad_co_u64_u32 v[0:1], null, s8, v62, 0
	v_mad_co_u64_u32 v[12:13], null, s8, v77, 0
	s_delay_alu instid0(VALU_DEP_3) | instskip(SKIP_4) | instid1(VALU_DEP_3)
	v_mad_co_u64_u32 v[2:3], null, s8, v8, 0
	v_add_nc_u32_e32 v15, 0x111, v62
	v_mad_co_u64_u32 v[24:25], null, s8, v78, 0
	v_add_nc_u32_e32 v32, 0x150, v62
	s_mov_b32 s2, exec_lo
	v_mad_co_u64_u32 v[20:21], null, s8, v15, 0
	v_mad_co_u64_u32 v[4:5], null, s9, v62, v[1:2]
	v_dual_mov_b32 v1, v3 :: v_dual_add_nc_u32 v10, 0x1a4, v62
                                        ; implicit-def: $vgpr54_vgpr55
                                        ; implicit-def: $vgpr58_vgpr59
                                        ; implicit-def: $vgpr48_vgpr49
	v_add_nc_u32_e32 v33, 0x222, v62
	s_delay_alu instid0(VALU_DEP_2) | instskip(NEXT) | instid1(VALU_DEP_4)
	v_mad_co_u64_u32 v[8:9], null, s9, v8, v[1:2]
	v_mov_b32_e32 v1, v4
	s_delay_alu instid0(VALU_DEP_4) | instskip(SKIP_1) | instid1(VALU_DEP_3)
	v_mad_co_u64_u32 v[6:7], null, s8, v10, 0
	v_add_co_u32 v4, s0, s10, v64
	v_lshlrev_b64_e32 v[0:1], 4, v[0:1]
	v_mov_b32_e32 v3, v8
	s_wait_alu 0xf1ff
	v_add_co_ci_u32_e64 v5, s0, s11, v65, s0
	v_mad_co_u64_u32 v[7:8], null, s9, v10, v[7:8]
	v_mov_b32_e32 v8, v13
	v_lshlrev_b64_e32 v[2:3], 4, v[2:3]
	v_add_co_u32 v0, s0, v4, v0
	s_wait_alu 0xf1ff
	v_add_co_ci_u32_e64 v1, s0, v5, v1, s0
	v_mad_co_u64_u32 v[13:14], null, s9, v77, v[8:9]
	s_delay_alu instid0(VALU_DEP_4)
	v_add_co_u32 v8, s0, v4, v2
	s_wait_alu 0xf1ff
	v_add_co_ci_u32_e64 v9, s0, v5, v3, s0
	s_clause 0x1
	global_load_b128 v[0:3], v[0:1], off
	global_load_b128 v[8:11], v[8:9], off
	v_mov_b32_e32 v14, v21
	v_lshlrev_b64_e32 v[6:7], 4, v[6:7]
	v_lshlrev_b64_e32 v[12:13], 4, v[12:13]
	s_delay_alu instid0(VALU_DEP_3) | instskip(SKIP_1) | instid1(VALU_DEP_4)
	v_mad_co_u64_u32 v[14:15], null, s9, v15, v[14:15]
	v_add_nc_u32_e32 v18, 0x1e3, v62
	v_add_co_u32 v6, s0, v4, v6
	s_wait_alu 0xf1ff
	v_add_co_ci_u32_e64 v7, s0, v5, v7, s0
	v_add_co_u32 v16, s0, v4, v12
	v_mov_b32_e32 v21, v14
	v_mad_co_u64_u32 v[22:23], null, s8, v18, 0
	s_wait_alu 0xf1ff
	v_add_co_ci_u32_e64 v17, s0, v5, v13, s0
	v_mov_b32_e32 v13, v25
	v_mad_co_u64_u32 v[26:27], null, s8, v32, 0
	v_lshlrev_b64_e32 v[20:21], 4, v[20:21]
	v_mov_b32_e32 v12, v23
	s_delay_alu instid0(VALU_DEP_1)
	v_mad_co_u64_u32 v[28:29], null, s9, v18, v[12:13]
	v_mad_co_u64_u32 v[29:30], null, s9, v78, v[13:14]
	;; [unrolled: 1-line block ×3, first 2 shown]
	s_clause 0x1
	global_load_b128 v[12:15], v[6:7], off
	global_load_b128 v[16:19], v[16:17], off
	v_dual_mov_b32 v6, v27 :: v_dual_mov_b32 v23, v28
	v_add_co_u32 v20, s0, v4, v20
	v_mov_b32_e32 v25, v29
	s_delay_alu instid0(VALU_DEP_3)
	v_mad_co_u64_u32 v[6:7], null, s9, v32, v[6:7]
	v_mov_b32_e32 v7, v31
	v_lshlrev_b64_e32 v[22:23], 4, v[22:23]
	s_wait_alu 0xf1ff
	v_add_co_ci_u32_e64 v21, s0, v5, v21, s0
	v_lshlrev_b64_e32 v[24:25], 4, v[24:25]
	v_mov_b32_e32 v27, v6
	s_delay_alu instid0(VALU_DEP_4)
	v_add_co_u32 v6, s0, v4, v22
	s_wait_loadcnt 0x2
	v_mad_co_u64_u32 v[28:29], null, s9, v33, v[7:8]
	s_wait_alu 0xf1ff
	v_add_co_ci_u32_e64 v7, s0, v5, v23, s0
	v_lshlrev_b64_e32 v[22:23], 4, v[26:27]
	v_add_co_u32 v24, s0, v4, v24
	s_wait_alu 0xf1ff
	v_add_co_ci_u32_e64 v25, s0, v5, v25, s0
	v_mov_b32_e32 v31, v28
	s_delay_alu instid0(VALU_DEP_4) | instskip(SKIP_2) | instid1(VALU_DEP_3)
	v_add_co_u32 v32, s0, v4, v22
	s_wait_alu 0xf1ff
	v_add_co_ci_u32_e64 v33, s0, v5, v23, s0
	v_lshlrev_b64_e32 v[26:27], 4, v[30:31]
	s_delay_alu instid0(VALU_DEP_1) | instskip(SKIP_1) | instid1(VALU_DEP_2)
	v_add_co_u32 v26, s0, v4, v26
	s_wait_alu 0xf1ff
	v_add_co_ci_u32_e64 v27, s0, v5, v27, s0
	s_clause 0x4
	global_load_b128 v[36:39], v[20:21], off
	global_load_b128 v[20:23], v[6:7], off
	;; [unrolled: 1-line block ×5, first 2 shown]
	v_cmpx_gt_u32_e32 21, v62
	s_cbranch_execz .LBB0_14
; %bb.13:
	v_add_nc_u32_e32 v44, 0xbd, v62
	v_add_nc_u32_e32 v47, 0x261, v62
	s_delay_alu instid0(VALU_DEP_2) | instskip(NEXT) | instid1(VALU_DEP_2)
	v_mad_co_u64_u32 v[6:7], null, s8, v44, 0
	v_mad_co_u64_u32 v[42:43], null, s8, v47, 0
	s_delay_alu instid0(VALU_DEP_2) | instskip(NEXT) | instid1(VALU_DEP_1)
	v_mad_co_u64_u32 v[44:45], null, s9, v44, v[7:8]
	v_dual_mov_b32 v7, v44 :: v_dual_add_nc_u32 v46, 0x18f, v62
	s_delay_alu instid0(VALU_DEP_1) | instskip(NEXT) | instid1(VALU_DEP_2)
	v_mad_co_u64_u32 v[40:41], null, s8, v46, 0
	v_lshlrev_b64_e32 v[6:7], 4, v[6:7]
	s_delay_alu instid0(VALU_DEP_2) | instskip(SKIP_1) | instid1(VALU_DEP_3)
	v_mad_co_u64_u32 v[45:46], null, s9, v46, v[41:42]
	v_mad_co_u64_u32 v[46:47], null, s9, v47, v[43:44]
	v_add_co_u32 v6, s0, v4, v6
	s_wait_alu 0xf1ff
	s_delay_alu instid0(VALU_DEP_4) | instskip(NEXT) | instid1(VALU_DEP_4)
	v_add_co_ci_u32_e64 v7, s0, v5, v7, s0
	v_mov_b32_e32 v41, v45
	s_delay_alu instid0(VALU_DEP_4) | instskip(NEXT) | instid1(VALU_DEP_2)
	v_mov_b32_e32 v43, v46
	v_lshlrev_b64_e32 v[40:41], 4, v[40:41]
	s_delay_alu instid0(VALU_DEP_2) | instskip(NEXT) | instid1(VALU_DEP_2)
	v_lshlrev_b64_e32 v[42:43], 4, v[42:43]
	v_add_co_u32 v40, s0, v4, v40
	s_wait_alu 0xf1ff
	s_delay_alu instid0(VALU_DEP_3) | instskip(NEXT) | instid1(VALU_DEP_3)
	v_add_co_ci_u32_e64 v41, s0, v5, v41, s0
	v_add_co_u32 v4, s0, v4, v42
	s_wait_alu 0xf1ff
	v_add_co_ci_u32_e64 v5, s0, v5, v43, s0
	s_clause 0x2
	global_load_b128 v[54:57], v[6:7], off
	global_load_b128 v[58:61], v[40:41], off
	global_load_b128 v[48:51], v[4:5], off
.LBB0_14:
	s_wait_alu 0xfffe
	s_or_b32 exec_lo, exec_lo, s2
	v_mov_b32_e32 v68, v78
	v_mov_b32_e32 v66, v77
.LBB0_15:
	s_or_b32 exec_lo, exec_lo, s1
	s_wait_loadcnt 0x6
	v_add_f64_e32 v[4:5], v[12:13], v[8:9]
	s_wait_loadcnt 0x3
	v_add_f64_e32 v[6:7], v[20:21], v[36:37]
	;; [unrolled: 2-line block ×3, first 2 shown]
	v_add_f64_e32 v[42:43], v[48:49], v[58:59]
	v_add_f64_e32 v[44:45], v[8:9], v[0:1]
	v_add_f64_e64 v[46:47], v[10:11], -v[14:15]
	v_add_f64_e32 v[52:53], v[36:37], v[16:17]
	v_add_f64_e32 v[69:70], v[32:33], v[28:29]
	;; [unrolled: 1-line block ×3, first 2 shown]
	v_add_f64_e64 v[73:74], v[38:39], -v[22:23]
	s_mov_b32 s0, 0xe8584caa
	s_mov_b32 s1, 0x3febb67a
	;; [unrolled: 1-line block ×3, first 2 shown]
	s_wait_alu 0xfffe
	s_mov_b32 s2, s0
	v_fma_f64 v[0:1], v[4:5], -0.5, v[0:1]
	v_fma_f64 v[6:7], v[6:7], -0.5, v[16:17]
	v_add_f64_e64 v[16:17], v[34:35], -v[26:27]
	v_fma_f64 v[28:29], v[40:41], -0.5, v[28:29]
	v_add_f64_e64 v[40:41], v[60:61], -v[50:51]
	v_fma_f64 v[42:43], v[42:43], -0.5, v[54:55]
	v_add_f64_e32 v[44:45], v[12:13], v[44:45]
	v_add_f64_e32 v[54:55], v[24:25], v[69:70]
	;; [unrolled: 1-line block ×4, first 2 shown]
	v_fma_f64 v[69:70], v[46:47], s[0:1], v[0:1]
	v_fma_f64 v[71:72], v[73:74], s[0:1], v[6:7]
	s_wait_alu 0xfffe
	v_fma_f64 v[73:74], v[73:74], s[2:3], v[6:7]
	v_fma_f64 v[75:76], v[16:17], s[0:1], v[28:29]
	v_fma_f64 v[79:80], v[16:17], s[2:3], v[28:29]
	v_fma_f64 v[6:7], v[40:41], s[0:1], v[42:43]
	v_fma_f64 v[28:29], v[40:41], s[2:3], v[42:43]
	v_fma_f64 v[46:47], v[46:47], s[2:3], v[0:1]
	v_mad_u32_u24 v1, v62, 24, 0
	v_mad_i32_i24 v0, v66, 24, 0
	v_mad_i32_i24 v16, v68, 24, 0
	v_cmp_gt_u32_e64 s0, 21, v62
	ds_store_2addr_b64 v1, v[44:45], v[69:70] offset1:1
	ds_store_b64 v1, v[46:47] offset:16
	ds_store_2addr_b64 v0, v[52:53], v[71:72] offset1:1
	ds_store_b64 v0, v[73:74] offset:16
	;; [unrolled: 2-line block ×3, first 2 shown]
	v_add_nc_u32_e32 v17, 0x11b8, v1
	s_and_saveexec_b32 s1, s0
	s_cbranch_execz .LBB0_17
; %bb.16:
	ds_store_2addr_b64 v17, v[4:5], v[6:7] offset1:1
	ds_store_b64 v1, v[28:29] offset:4552
.LBB0_17:
	s_wait_alu 0xfffe
	s_or_b32 exec_lo, exec_lo, s1
	v_lshlrev_b32_e32 v40, 4, v62
	v_lshlrev_b32_e32 v63, 4, v68
	;; [unrolled: 1-line block ×3, first 2 shown]
	global_wb scope:SCOPE_SE
	s_wait_dscnt 0x0
	s_barrier_signal -1
	v_sub_nc_u32_e32 v79, v1, v40
	v_sub_nc_u32_e32 v44, v16, v63
	;; [unrolled: 1-line block ×3, first 2 shown]
	s_barrier_wait -1
	global_inv scope:SCOPE_SE
	v_add_nc_u32_e32 v45, 0x800, v79
	ds_load_2addr_b64 v[40:43], v79 offset1:210
	ds_load_b64 v[69:70], v44
	ds_load_2addr_b64 v[52:55], v45 offset0:164 offset1:227
	ds_load_2addr_b64 v[44:47], v45 offset0:17 offset1:80
	ds_load_b64 v[71:72], v71
	ds_load_b64 v[73:74], v79 offset:4368
	s_and_saveexec_b32 s1, s0
	s_cbranch_execz .LBB0_19
; %bb.18:
	v_add_nc_u32_e32 v4, 0x500, v79
	ds_load_2addr_b64 v[4:7], v4 offset0:29 offset1:239
	ds_load_b64 v[28:29], v79 offset:4872
.LBB0_19:
	s_wait_alu 0xfffe
	s_or_b32 exec_lo, exec_lo, s1
	v_add_f64_e32 v[75:76], v[14:15], v[10:11]
	v_add_f64_e32 v[80:81], v[22:23], v[38:39]
	;; [unrolled: 1-line block ×5, first 2 shown]
	v_add_f64_e64 v[12:13], v[8:9], -v[12:13]
	v_add_f64_e32 v[8:9], v[38:39], v[18:19]
	v_add_f64_e32 v[34:35], v[34:35], v[30:31]
	v_add_f64_e32 v[38:39], v[60:61], v[56:57]
	v_add_f64_e64 v[20:21], v[36:37], -v[20:21]
	v_add_f64_e64 v[24:25], v[32:33], -v[24:25]
	v_add_f64_e64 v[32:33], v[58:59], -v[48:49]
	s_mov_b32 s2, 0xe8584caa
	s_mov_b32 s3, 0xbfebb67a
	;; [unrolled: 1-line block ×3, first 2 shown]
	s_wait_alu 0xfffe
	s_mov_b32 s6, s2
	global_wb scope:SCOPE_SE
	s_wait_dscnt 0x0
	s_barrier_signal -1
	s_barrier_wait -1
	global_inv scope:SCOPE_SE
	v_fma_f64 v[2:3], v[75:76], -0.5, v[2:3]
	v_fma_f64 v[18:19], v[80:81], -0.5, v[18:19]
	;; [unrolled: 1-line block ×4, first 2 shown]
	v_add_f64_e32 v[14:15], v[14:15], v[10:11]
	v_add_f64_e32 v[22:23], v[22:23], v[8:9]
	;; [unrolled: 1-line block ×4, first 2 shown]
	v_fma_f64 v[34:35], v[12:13], s[2:3], v[2:3]
	v_fma_f64 v[38:39], v[20:21], s[2:3], v[18:19]
	s_wait_alu 0xfffe
	v_fma_f64 v[18:19], v[20:21], s[6:7], v[18:19]
	v_fma_f64 v[20:21], v[24:25], s[2:3], v[30:31]
	;; [unrolled: 1-line block ×6, first 2 shown]
	v_sub_nc_u32_e32 v2, 0, v67
	v_sub_nc_u32_e32 v3, 0, v63
	ds_store_2addr_b64 v1, v[14:15], v[34:35] offset1:1
	ds_store_b64 v1, v[12:13] offset:16
	ds_store_2addr_b64 v0, v[22:23], v[38:39] offset1:1
	ds_store_b64 v0, v[18:19] offset:16
	;; [unrolled: 2-line block ×3, first 2 shown]
	s_and_saveexec_b32 s1, s0
	s_cbranch_execz .LBB0_21
; %bb.20:
	ds_store_2addr_b64 v17, v[8:9], v[10:11] offset1:1
	ds_store_b64 v1, v[24:25] offset:4552
.LBB0_21:
	s_wait_alu 0xfffe
	s_or_b32 exec_lo, exec_lo, s1
	v_add_nc_u32_e32 v1, 0x800, v79
	v_add_nc_u32_e32 v82, v16, v3
	;; [unrolled: 1-line block ×3, first 2 shown]
	global_wb scope:SCOPE_SE
	s_wait_dscnt 0x0
	s_barrier_signal -1
	s_barrier_wait -1
	global_inv scope:SCOPE_SE
	ds_load_2addr_b64 v[12:15], v79 offset1:210
	ds_load_2addr_b64 v[16:19], v1 offset0:164 offset1:227
	ds_load_2addr_b64 v[0:3], v1 offset0:17 offset1:80
	ds_load_b64 v[20:21], v82
	ds_load_b64 v[22:23], v81
	ds_load_b64 v[26:27], v79 offset:4368
	s_and_saveexec_b32 s1, s0
	s_cbranch_execz .LBB0_23
; %bb.22:
	v_add_nc_u32_e32 v8, 0x500, v79
	ds_load_2addr_b64 v[8:11], v8 offset0:29 offset1:239
	ds_load_b64 v[24:25], v79 offset:4872
.LBB0_23:
	s_wait_alu 0xfffe
	s_or_b32 exec_lo, exec_lo, s1
	v_and_b32_e32 v56, 0xff, v62
	v_and_b32_e32 v63, 0xff, v66
	;; [unrolled: 1-line block ×3, first 2 shown]
	v_add_nc_u32_e32 v80, 0xbd, v62
	s_mov_b32 s2, 0xe8584caa
	v_mul_lo_u16 v31, 0xab, v56
	v_mul_lo_u16 v32, 0xab, v63
	;; [unrolled: 1-line block ×3, first 2 shown]
	v_and_b32_e32 v33, 0xff, v80
	s_mov_b32 s3, 0x3febb67a
	v_lshrrev_b16 v67, 9, v31
	v_lshrrev_b16 v113, 9, v32
	;; [unrolled: 1-line block ×3, first 2 shown]
	v_mul_lo_u16 v30, 0xab, v33
	s_mov_b32 s7, 0xbfebb67a
	v_mul_lo_u16 v31, v67, 3
	v_mul_lo_u16 v32, v113, 3
	;; [unrolled: 1-line block ×3, first 2 shown]
	v_lshrrev_b16 v115, 9, v30
	s_wait_alu 0xfffe
	s_mov_b32 s6, s2
	v_sub_nc_u16 v30, v62, v31
	v_sub_nc_u16 v31, v66, v32
	;; [unrolled: 1-line block ×3, first 2 shown]
	v_mul_lo_u16 v33, v115, 3
	s_delay_alu instid0(VALU_DEP_4) | instskip(NEXT) | instid1(VALU_DEP_4)
	v_and_b32_e32 v116, 0xff, v30
	v_and_b32_e32 v117, 0xff, v31
	s_delay_alu instid0(VALU_DEP_4) | instskip(NEXT) | instid1(VALU_DEP_4)
	v_and_b32_e32 v118, 0xff, v32
	v_sub_nc_u16 v30, v80, v33
	s_delay_alu instid0(VALU_DEP_4) | instskip(NEXT) | instid1(VALU_DEP_4)
	v_lshlrev_b32_e32 v31, 5, v116
	v_lshlrev_b32_e32 v32, 5, v117
	s_delay_alu instid0(VALU_DEP_4) | instskip(NEXT) | instid1(VALU_DEP_4)
	v_lshlrev_b32_e32 v33, 5, v118
	v_and_b32_e32 v119, 0xff, v30
	s_clause 0x4
	global_load_b128 v[48:51], v31, s[4:5] offset:16
	global_load_b128 v[57:60], v32, s[4:5] offset:16
	global_load_b128 v[83:86], v32, s[4:5]
	global_load_b128 v[87:90], v31, s[4:5]
	;; [unrolled: 1-line block ×3, first 2 shown]
	v_lshlrev_b32_e32 v30, 5, v119
	s_clause 0x2
	global_load_b128 v[95:98], v33, s[4:5] offset:16
	global_load_b128 v[99:102], v30, s[4:5]
	global_load_b128 v[103:106], v30, s[4:5] offset:16
	global_wb scope:SCOPE_SE
	s_wait_loadcnt_dscnt 0x0
	s_barrier_signal -1
	s_barrier_wait -1
	global_inv scope:SCOPE_SE
	v_mul_f64_e32 v[30:31], v[16:17], v[50:51]
	v_mul_f64_e32 v[32:33], v[18:19], v[59:60]
	;; [unrolled: 1-line block ×11, first 2 shown]
	v_fma_f64 v[34:35], v[52:53], v[48:49], -v[30:31]
	v_fma_f64 v[30:31], v[54:55], v[57:58], -v[32:33]
	v_mul_f64_e32 v[54:55], v[46:47], v[93:94]
	v_mul_f64_e32 v[52:53], v[42:43], v[89:90]
	v_fma_f64 v[36:37], v[44:45], v[83:84], -v[36:37]
	v_fma_f64 v[32:33], v[46:47], v[91:92], -v[38:39]
	v_fma_f64 v[46:47], v[42:43], v[87:88], -v[75:76]
	v_mul_f64_e32 v[75:76], v[73:74], v[97:98]
	v_mul_f64_e32 v[89:90], v[6:7], v[101:102]
	v_fma_f64 v[38:39], v[73:74], v[95:96], -v[107:108]
	v_mul_f64_e32 v[73:74], v[28:29], v[105:106]
	v_fma_f64 v[42:43], v[6:7], v[99:100], -v[109:110]
	v_fma_f64 v[44:45], v[28:29], v[103:104], -v[111:112]
	v_fma_f64 v[6:7], v[16:17], v[48:49], v[50:51]
	v_fma_f64 v[28:29], v[18:19], v[57:58], v[59:60]
	;; [unrolled: 1-line block ×5, first 2 shown]
	v_add_f64_e32 v[2:3], v[36:37], v[30:31]
	v_add_f64_e32 v[57:58], v[71:72], v[36:37]
	;; [unrolled: 1-line block ×3, first 2 shown]
	v_fma_f64 v[14:15], v[26:27], v[95:96], v[75:76]
	v_fma_f64 v[16:17], v[10:11], v[99:100], v[89:90]
	v_add_f64_e32 v[10:11], v[32:33], v[38:39]
	v_fma_f64 v[18:19], v[24:25], v[103:104], v[73:74]
	v_add_f64_e32 v[26:27], v[40:41], v[46:47]
	v_add_f64_e32 v[24:25], v[42:43], v[44:45]
	v_add_f64_e32 v[59:60], v[69:70], v[32:33]
	v_add_f64_e64 v[54:55], v[52:53], -v[6:7]
	v_fma_f64 v[2:3], v[2:3], -0.5, v[71:72]
	v_add_f64_e32 v[73:74], v[57:58], v[30:31]
	v_fma_f64 v[0:1], v[0:1], -0.5, v[40:41]
	v_add_f64_e64 v[40:41], v[48:49], -v[28:29]
	v_add_f64_e64 v[71:72], v[50:51], -v[14:15]
	v_fma_f64 v[10:11], v[10:11], -0.5, v[69:70]
	v_add_f64_e64 v[69:70], v[16:17], -v[18:19]
	v_add_f64_e32 v[26:27], v[26:27], v[34:35]
	v_fma_f64 v[24:25], v[24:25], -0.5, v[4:5]
	v_add_f64_e32 v[58:59], v[59:60], v[38:39]
	v_fma_f64 v[60:61], v[54:55], s[2:3], v[0:1]
	s_wait_alu 0xfffe
	v_fma_f64 v[75:76], v[54:55], s[6:7], v[0:1]
	v_fma_f64 v[83:84], v[40:41], s[2:3], v[2:3]
	;; [unrolled: 1-line block ×7, first 2 shown]
	v_and_b32_e32 v24, 0xffff, v67
	v_and_b32_e32 v25, 0xffff, v113
	;; [unrolled: 1-line block ×3, first 2 shown]
	v_lshlrev_b32_e32 v54, 3, v116
	v_lshlrev_b32_e32 v55, 3, v117
	v_mul_u32_u24_e32 v24, 0x48, v24
	v_mul_u32_u24_e32 v25, 0x48, v25
	;; [unrolled: 1-line block ×3, first 2 shown]
	v_lshlrev_b32_e32 v67, 3, v118
	v_and_b32_e32 v40, 0xffff, v115
	v_add3_u32 v57, 0, v24, v54
	v_add3_u32 v55, 0, v25, v55
	ds_store_2addr_b64 v57, v[26:27], v[60:61] offset1:3
	ds_store_b64 v57, v[75:76] offset:48
	v_add3_u32 v54, 0, v41, v67
	v_lshlrev_b32_e32 v41, 3, v119
	ds_store_2addr_b64 v55, v[73:74], v[83:84] offset1:3
	ds_store_b64 v55, v[85:86] offset:48
	ds_store_2addr_b64 v54, v[58:59], v[87:88] offset1:3
	ds_store_b64 v54, v[10:11] offset:48
	s_and_saveexec_b32 s1, s0
	s_cbranch_execz .LBB0_25
; %bb.24:
	v_add_f64_e32 v[4:5], v[4:5], v[42:43]
	v_mul_u32_u24_e32 v10, 0x48, v40
	s_delay_alu instid0(VALU_DEP_1) | instskip(NEXT) | instid1(VALU_DEP_3)
	v_add3_u32 v10, 0, v10, v41
	v_add_f64_e32 v[4:5], v[4:5], v[44:45]
	ds_store_2addr_b64 v10, v[4:5], v[0:1] offset1:3
	ds_store_b64 v10, v[2:3] offset:48
.LBB0_25:
	s_wait_alu 0xfffe
	s_or_b32 exec_lo, exec_lo, s1
	v_add_f64_e32 v[4:5], v[52:53], v[6:7]
	v_add_f64_e32 v[24:25], v[50:51], v[14:15]
	;; [unrolled: 1-line block ×5, first 2 shown]
	v_add_f64_e64 v[34:35], v[46:47], -v[34:35]
	v_add_f64_e32 v[46:47], v[22:23], v[48:49]
	v_add_f64_e32 v[48:49], v[20:21], v[50:51]
	v_lshl_add_u32 v83, v62, 3, 0
	global_wb scope:SCOPE_SE
	s_wait_dscnt 0x0
	s_barrier_signal -1
	s_barrier_wait -1
	global_inv scope:SCOPE_SE
	v_fma_f64 v[4:5], v[4:5], -0.5, v[12:13]
	v_fma_f64 v[20:21], v[24:25], -0.5, v[20:21]
	v_add_f64_e64 v[24:25], v[42:43], -v[44:45]
	v_fma_f64 v[26:27], v[26:27], -0.5, v[8:9]
	v_add_f64_e64 v[12:13], v[36:37], -v[30:31]
	;; [unrolled: 2-line block ×3, first 2 shown]
	v_add_f64_e32 v[37:38], v[52:53], v[6:7]
	v_add_f64_e32 v[28:29], v[46:47], v[28:29]
	;; [unrolled: 1-line block ×3, first 2 shown]
	v_add_nc_u32_e32 v36, 0x800, v79
	v_fma_f64 v[44:45], v[34:35], s[6:7], v[4:5]
	v_fma_f64 v[46:47], v[34:35], s[2:3], v[4:5]
	;; [unrolled: 1-line block ×8, first 2 shown]
	ds_load_2addr_b64 v[10:13], v79 offset1:189
	ds_load_2addr_b64 v[20:23], v36 offset0:59 offset1:122
	ds_load_2addr_b64 v[24:27], v36 offset0:185 offset1:248
	ds_load_b64 v[34:35], v82
	ds_load_b64 v[14:15], v81
	ds_load_b64 v[32:33], v83 offset:2016
	ds_load_b64 v[30:31], v79 offset:4536
	global_wb scope:SCOPE_SE
	s_wait_dscnt 0x0
	s_barrier_signal -1
	s_barrier_wait -1
	global_inv scope:SCOPE_SE
	ds_store_2addr_b64 v57, v[37:38], v[44:45] offset1:3
	ds_store_b64 v57, v[46:47] offset:48
	ds_store_2addr_b64 v55, v[28:29], v[48:49] offset1:3
	ds_store_b64 v55, v[50:51] offset:48
	;; [unrolled: 2-line block ×3, first 2 shown]
	s_and_saveexec_b32 s1, s0
	s_cbranch_execz .LBB0_27
; %bb.26:
	v_add_f64_e32 v[8:9], v[8:9], v[16:17]
	v_mul_u32_u24_e32 v16, 0x48, v40
	s_delay_alu instid0(VALU_DEP_1) | instskip(NEXT) | instid1(VALU_DEP_3)
	v_add3_u32 v16, 0, v16, v41
	v_add_f64_e32 v[8:9], v[8:9], v[18:19]
	ds_store_2addr_b64 v16, v[8:9], v[4:5] offset1:3
	ds_store_b64 v16, v[6:7] offset:48
.LBB0_27:
	s_wait_alu 0xfffe
	s_or_b32 exec_lo, exec_lo, s1
	v_mul_lo_u16 v8, v56, 57
	v_mul_lo_u16 v9, v63, 57
	global_wb scope:SCOPE_SE
	s_wait_dscnt 0x0
	s_barrier_signal -1
	s_barrier_wait -1
	v_lshrrev_b16 v67, 9, v8
	v_lshrrev_b16 v120, 9, v9
	global_inv scope:SCOPE_SE
	s_mov_b32 s2, 0x134454ff
	s_mov_b32 s3, 0x3fee6f0e
	v_mul_lo_u16 v8, v67, 9
	v_mul_lo_u16 v9, v120, 9
	s_mov_b32 s7, 0xbfee6f0e
	s_wait_alu 0xfffe
	s_mov_b32 s6, s2
	s_mov_b32 s12, 0x4755a5e
	v_sub_nc_u16 v8, v62, v8
	v_sub_nc_u16 v9, v66, v9
	s_mov_b32 s13, 0x3fe2cf23
	s_mov_b32 s15, 0xbfe2cf23
	;; [unrolled: 1-line block ×3, first 2 shown]
	v_and_b32_e32 v121, 0xff, v8
	v_and_b32_e32 v122, 0xff, v9
	s_mov_b32 s16, 0x372fe950
	s_mov_b32 s17, 0x3fd3c6ef
	v_cmp_gt_u32_e64 s0, 27, v62
	v_lshlrev_b32_e32 v8, 6, v121
	v_lshlrev_b32_e32 v9, 6, v122
	s_clause 0x7
	global_load_b128 v[37:40], v8, s[4:5] offset:96
	global_load_b128 v[41:44], v8, s[4:5] offset:112
	global_load_b128 v[48:51], v8, s[4:5] offset:128
	global_load_b128 v[52:55], v8, s[4:5] offset:144
	global_load_b128 v[73:76], v9, s[4:5] offset:96
	global_load_b128 v[84:87], v9, s[4:5] offset:112
	global_load_b128 v[88:91], v9, s[4:5] offset:128
	global_load_b128 v[92:95], v9, s[4:5] offset:144
	ds_load_b64 v[8:9], v82
	ds_load_b64 v[104:105], v83 offset:2016
	ds_load_2addr_b64 v[96:99], v36 offset0:59 offset1:122
	ds_load_2addr_b64 v[100:103], v36 offset0:185 offset1:248
	ds_load_2addr_b64 v[16:19], v79 offset1:189
	ds_load_b64 v[28:29], v81
	ds_load_b64 v[106:107], v79 offset:4536
	global_wb scope:SCOPE_SE
	s_wait_loadcnt_dscnt 0x0
	s_barrier_signal -1
	s_barrier_wait -1
	global_inv scope:SCOPE_SE
	v_mul_f64_e32 v[45:46], v[8:9], v[39:40]
	v_mul_f64_e32 v[56:57], v[104:105], v[43:44]
	;; [unrolled: 1-line block ×15, first 2 shown]
	v_fma_f64 v[46:47], v[34:35], v[37:38], -v[45:46]
	v_fma_f64 v[54:55], v[32:33], v[41:42], -v[56:57]
	;; [unrolled: 1-line block ×4, first 2 shown]
	v_mul_f64_e32 v[34:35], v[30:31], v[94:95]
	v_fma_f64 v[50:51], v[20:21], v[84:85], -v[108:109]
	v_fma_f64 v[58:59], v[24:25], v[88:89], -v[110:111]
	v_fma_f64 v[56:57], v[12:13], v[73:74], -v[71:72]
	v_fma_f64 v[71:72], v[30:31], v[92:93], -v[112:113]
	v_fma_f64 v[44:45], v[8:9], v[37:38], v[39:40]
	v_fma_f64 v[24:25], v[102:103], v[52:53], v[118:119]
	;; [unrolled: 1-line block ×7, first 2 shown]
	v_add_f64_e32 v[32:33], v[10:11], v[46:47]
	v_add_f64_e64 v[84:85], v[54:55], -v[46:47]
	v_add_f64_e32 v[8:9], v[54:55], v[60:61]
	v_add_f64_e32 v[12:13], v[46:47], v[69:70]
	v_fma_f64 v[18:19], v[106:107], v[92:93], v[34:35]
	v_add_f64_e64 v[75:76], v[69:70], -v[60:61]
	v_add_f64_e32 v[20:21], v[50:51], v[58:59]
	v_add_f64_e32 v[48:49], v[14:15], v[56:57]
	;; [unrolled: 1-line block ×3, first 2 shown]
	v_add_f64_e64 v[86:87], v[60:61], -v[69:70]
	v_add_f64_e64 v[34:35], v[44:45], -v[24:25]
	;; [unrolled: 1-line block ×7, first 2 shown]
	v_add_f64_e32 v[32:33], v[32:33], v[54:55]
	v_fma_f64 v[8:9], v[8:9], -0.5, v[10:11]
	v_fma_f64 v[10:11], v[12:13], -0.5, v[10:11]
	v_add_f64_e64 v[52:53], v[42:43], -v[18:19]
	v_add_f64_e64 v[12:13], v[40:41], -v[73:74]
	v_fma_f64 v[20:21], v[20:21], -0.5, v[14:15]
	v_add_f64_e32 v[48:49], v[48:49], v[50:51]
	v_fma_f64 v[14:15], v[22:23], -0.5, v[14:15]
	v_add_f64_e64 v[22:23], v[46:47], -v[54:55]
	v_add_f64_e32 v[32:33], v[32:33], v[60:61]
	v_fma_f64 v[96:97], v[34:35], s[2:3], v[8:9]
	s_wait_alu 0xfffe
	v_fma_f64 v[8:9], v[34:35], s[6:7], v[8:9]
	v_fma_f64 v[98:99], v[37:38], s[6:7], v[10:11]
	;; [unrolled: 1-line block ×7, first 2 shown]
	v_add_f64_e32 v[22:23], v[22:23], v[75:76]
	v_add_f64_e32 v[75:76], v[84:85], v[86:87]
	;; [unrolled: 1-line block ×5, first 2 shown]
	v_fma_f64 v[88:89], v[37:38], s[12:13], v[96:97]
	v_fma_f64 v[8:9], v[37:38], s[14:15], v[8:9]
	v_fma_f64 v[37:38], v[34:35], s[12:13], v[98:99]
	v_fma_f64 v[10:11], v[34:35], s[14:15], v[10:11]
	v_fma_f64 v[34:35], v[12:13], s[12:13], v[100:101]
	v_fma_f64 v[12:13], v[12:13], s[14:15], v[20:21]
	v_fma_f64 v[90:91], v[52:53], s[12:13], v[102:103]
	v_fma_f64 v[14:15], v[52:53], s[14:15], v[14:15]
	v_add_f64_e32 v[20:21], v[32:33], v[69:70]
	v_add_f64_e32 v[32:33], v[48:49], v[71:72]
	v_fma_f64 v[52:53], v[22:23], s[16:17], v[88:89]
	v_fma_f64 v[22:23], v[22:23], s[16:17], v[8:9]
	;; [unrolled: 1-line block ×8, first 2 shown]
	v_and_b32_e32 v12, 0xffff, v67
	v_and_b32_e32 v13, 0xffff, v120
	v_lshlrev_b32_e32 v14, 3, v121
	v_lshlrev_b32_e32 v15, 3, v122
	v_add_nc_u32_e32 v67, 0x400, v79
	v_mul_u32_u24_e32 v12, 0x168, v12
	v_mul_u32_u24_e32 v13, 0x168, v13
	s_delay_alu instid0(VALU_DEP_2) | instskip(NEXT) | instid1(VALU_DEP_2)
	v_add3_u32 v75, 0, v12, v14
	v_add3_u32 v76, 0, v13, v15
                                        ; implicit-def: $vgpr14_vgpr15
	ds_store_2addr_b64 v75, v[20:21], v[52:53] offset1:9
	ds_store_2addr_b64 v75, v[37:38], v[88:89] offset0:18 offset1:27
	ds_store_b64 v75, v[22:23] offset:288
	ds_store_2addr_b64 v76, v[32:33], v[34:35] offset1:9
	ds_store_2addr_b64 v76, v[48:49], v[8:9] offset0:18 offset1:27
	ds_store_b64 v76, v[10:11] offset:288
	global_wb scope:SCOPE_SE
	s_wait_dscnt 0x0
	s_barrier_signal -1
	s_barrier_wait -1
	global_inv scope:SCOPE_SE
	ds_load_2addr_b64 v[20:23], v79 offset1:90
	ds_load_2addr_b64 v[32:35], v67 offset0:52 offset1:142
	ds_load_2addr_b64 v[36:39], v36 offset0:104 offset1:194
	ds_load_b64 v[52:53], v79 offset:4320
	s_and_saveexec_b32 s1, s0
	s_cbranch_execz .LBB0_29
; %bb.28:
	v_add_nc_u32_e32 v0, 0x800, v79
	v_add_nc_u32_e32 v12, 0x1000, v79
	ds_load_b64 v[48:49], v81
	ds_load_2addr_b64 v[8:11], v79 offset0:153 offset1:243
	ds_load_2addr_b64 v[0:3], v0 offset0:77 offset1:167
	;; [unrolled: 1-line block ×3, first 2 shown]
.LBB0_29:
	s_wait_alu 0xfffe
	s_or_b32 exec_lo, exec_lo, s1
	v_add_f64_e32 v[84:85], v[30:31], v[26:27]
	v_add_f64_e32 v[86:87], v[44:45], v[24:25]
	;; [unrolled: 1-line block ×5, first 2 shown]
	v_add_f64_e64 v[46:47], v[46:47], -v[69:70]
	v_add_f64_e64 v[54:55], v[54:55], -v[60:61]
	v_add_f64_e32 v[60:61], v[28:29], v[42:43]
	v_add_f64_e64 v[56:57], v[56:57], -v[71:72]
	v_add_f64_e64 v[50:51], v[50:51], -v[58:59]
	;; [unrolled: 1-line block ×5, first 2 shown]
	global_wb scope:SCOPE_SE
	s_wait_dscnt 0x0
	s_barrier_signal -1
	s_barrier_wait -1
	global_inv scope:SCOPE_SE
	v_fma_f64 v[69:70], v[84:85], -0.5, v[16:17]
	v_fma_f64 v[16:17], v[86:87], -0.5, v[16:17]
	;; [unrolled: 1-line block ×4, first 2 shown]
	v_add_f64_e64 v[84:85], v[24:25], -v[26:27]
	v_add_f64_e64 v[88:89], v[42:43], -v[40:41]
	;; [unrolled: 1-line block ×3, first 2 shown]
	v_add_f64_e32 v[30:31], v[92:93], v[30:31]
	v_add_f64_e32 v[40:41], v[60:61], v[40:41]
	v_add_f64_e64 v[86:87], v[26:27], -v[24:25]
	v_add_f64_e64 v[90:91], v[18:19], -v[73:74]
	v_fma_f64 v[60:61], v[46:47], s[6:7], v[69:70]
	v_fma_f64 v[69:70], v[46:47], s[2:3], v[69:70]
	;; [unrolled: 1-line block ×8, first 2 shown]
	v_add_f64_e32 v[71:72], v[71:72], v[84:85]
	v_add_f64_e32 v[26:27], v[30:31], v[26:27]
	;; [unrolled: 1-line block ×6, first 2 shown]
	v_fma_f64 v[40:41], v[54:55], s[14:15], v[60:61]
	v_fma_f64 v[54:55], v[54:55], s[12:13], v[69:70]
	;; [unrolled: 1-line block ×8, first 2 shown]
	v_add_f64_e32 v[58:59], v[26:27], v[24:25]
	v_add_f64_e32 v[18:19], v[30:31], v[18:19]
	v_fma_f64 v[30:31], v[71:72], s[16:17], v[40:41]
	v_fma_f64 v[40:41], v[71:72], s[16:17], v[54:55]
	;; [unrolled: 1-line block ×8, first 2 shown]
	v_add_nc_u32_e32 v28, 0x800, v79
	ds_store_2addr_b64 v75, v[58:59], v[30:31] offset1:9
	ds_store_2addr_b64 v75, v[54:55], v[16:17] offset0:18 offset1:27
	ds_store_b64 v75, v[40:41] offset:288
	ds_store_2addr_b64 v76, v[18:19], v[44:45] offset1:9
	ds_store_2addr_b64 v76, v[50:51], v[24:25] offset0:18 offset1:27
	ds_store_b64 v76, v[26:27] offset:288
	global_wb scope:SCOPE_SE
	s_wait_dscnt 0x0
	s_barrier_signal -1
	s_barrier_wait -1
	global_inv scope:SCOPE_SE
	ds_load_2addr_b64 v[16:19], v79 offset1:90
	ds_load_2addr_b64 v[40:43], v67 offset0:52 offset1:142
	ds_load_2addr_b64 v[44:47], v28 offset0:104 offset1:194
	ds_load_b64 v[54:55], v79 offset:4320
                                        ; implicit-def: $vgpr30_vgpr31
	s_and_saveexec_b32 s1, s0
	s_cbranch_execz .LBB0_31
; %bb.30:
	v_add_nc_u32_e32 v29, 0x1000, v79
	ds_load_b64 v[50:51], v81
	ds_load_2addr_b64 v[24:27], v79 offset0:153 offset1:243
	ds_load_2addr_b64 v[4:7], v28 offset0:77 offset1:167
	ds_load_2addr_b64 v[28:31], v29 offset0:1 offset1:91
.LBB0_31:
	s_wait_alu 0xfffe
	s_or_b32 exec_lo, exec_lo, s1
	v_subrev_nc_u32_e32 v56, 45, v62
	v_cmp_gt_u32_e64 s1, 45, v62
	v_mov_b32_e32 v57, 0
	s_mov_b32 s2, 0x37e14327
	s_mov_b32 s12, 0xe976ee23
	;; [unrolled: 1-line block ×3, first 2 shown]
	s_wait_alu 0xf1ff
	v_cndmask_b32_e64 v67, v56, v62, s1
	s_mov_b32 s13, 0xbfe11646
	s_mov_b32 s6, 0x429ad128
	;; [unrolled: 1-line block ×4, first 2 shown]
	v_mul_i32_i24_e32 v56, 6, v67
	s_mov_b32 s15, 0x3fac98ee
	s_mov_b32 s20, 0xb247c609
	;; [unrolled: 1-line block ×4, first 2 shown]
	v_lshlrev_b64_e32 v[56:57], 4, v[56:57]
	s_mov_b32 s21, 0x3fd5d0dc
	s_mov_b32 s25, 0xbff2aaaa
	;; [unrolled: 1-line block ×5, first 2 shown]
	v_add_co_u32 v60, s1, s4, v56
	s_wait_alu 0xf1ff
	v_add_co_ci_u32_e64 v61, s1, s5, v57, s1
	s_wait_alu 0xfffe
	s_mov_b32 s18, s16
	s_mov_b32 s22, s20
	s_clause 0x5
	global_load_b128 v[56:59], v[60:61], off offset:672
	global_load_b128 v[69:72], v[60:61], off offset:688
	global_load_b128 v[73:76], v[60:61], off offset:736
	global_load_b128 v[84:87], v[60:61], off offset:752
	global_load_b128 v[88:91], v[60:61], off offset:704
	global_load_b128 v[92:95], v[60:61], off offset:720
	v_mul_lo_u16 v60, 0x6d, v63
	s_mov_b32 s26, 0x37c3f68c
	s_mov_b32 s27, 0x3fdc38aa
	v_cmp_lt_u32_e64 s1, 44, v62
	s_delay_alu instid0(VALU_DEP_2) | instskip(NEXT) | instid1(VALU_DEP_1)
	v_lshrrev_b16 v60, 8, v60
	v_sub_nc_u16 v61, v66, v60
	s_delay_alu instid0(VALU_DEP_1) | instskip(NEXT) | instid1(VALU_DEP_1)
	v_lshrrev_b16 v61, 1, v61
	v_and_b32_e32 v61, 0x7f, v61
	s_delay_alu instid0(VALU_DEP_1) | instskip(NEXT) | instid1(VALU_DEP_1)
	v_add_nc_u16 v60, v61, v60
	v_lshrrev_b16 v60, 5, v60
	s_delay_alu instid0(VALU_DEP_1) | instskip(NEXT) | instid1(VALU_DEP_1)
	v_mul_lo_u16 v60, v60, 45
	v_sub_nc_u16 v60, v66, v60
	s_delay_alu instid0(VALU_DEP_1) | instskip(NEXT) | instid1(VALU_DEP_1)
	v_and_b32_e32 v63, 0xff, v60
	v_mul_u32_u24_e32 v60, 6, v63
	v_lshl_add_u32 v63, v63, 3, 0
	s_delay_alu instid0(VALU_DEP_2)
	v_lshlrev_b32_e32 v60, 4, v60
	s_clause 0x5
	global_load_b128 v[96:99], v60, s[4:5] offset:672
	global_load_b128 v[100:103], v60, s[4:5] offset:688
	;; [unrolled: 1-line block ×6, first 2 shown]
	global_wb scope:SCOPE_SE
	s_wait_loadcnt_dscnt 0x0
	s_barrier_signal -1
	s_barrier_wait -1
	global_inv scope:SCOPE_SE
	v_mul_f64_e32 v[60:61], v[18:19], v[58:59]
	v_mul_f64_e32 v[58:59], v[22:23], v[58:59]
	;; [unrolled: 1-line block ×5, first 2 shown]
	v_fma_f64 v[22:23], v[22:23], v[56:57], -v[60:61]
	v_fma_f64 v[18:19], v[18:19], v[56:57], v[58:59]
	v_mul_f64_e32 v[56:57], v[38:39], v[75:76]
	v_mul_f64_e32 v[58:59], v[54:55], v[86:87]
	v_fma_f64 v[32:33], v[32:33], v[69:70], -v[120:121]
	v_fma_f64 v[40:41], v[40:41], v[69:70], v[71:72]
	v_mul_f64_e32 v[60:61], v[34:35], v[90:91]
	v_mul_f64_e32 v[69:70], v[42:43], v[90:91]
	v_fma_f64 v[38:39], v[38:39], v[73:74], -v[122:123]
	v_mul_f64_e32 v[71:72], v[52:53], v[86:87]
	v_mul_f64_e32 v[120:121], v[30:31], v[118:119]
	;; [unrolled: 1-line block ×3, first 2 shown]
	v_fma_f64 v[46:47], v[46:47], v[73:74], v[56:57]
	v_mul_f64_e32 v[56:57], v[36:37], v[94:95]
	v_fma_f64 v[52:53], v[52:53], v[84:85], -v[58:59]
	v_mul_f64_e32 v[58:59], v[44:45], v[94:95]
	v_fma_f64 v[42:43], v[42:43], v[88:89], v[60:61]
	v_fma_f64 v[34:35], v[34:35], v[88:89], -v[69:70]
	v_mul_f64_e32 v[94:95], v[8:9], v[98:99]
	v_fma_f64 v[54:55], v[54:55], v[84:85], v[71:72]
	v_fma_f64 v[30:31], v[30:31], v[116:117], v[118:119]
	v_add_f64_e64 v[60:61], v[40:41], -v[46:47]
	v_fma_f64 v[44:45], v[44:45], v[92:93], v[56:57]
	v_add_f64_e32 v[56:57], v[22:23], v[52:53]
	v_fma_f64 v[36:37], v[36:37], v[92:93], -v[58:59]
	v_add_f64_e32 v[58:59], v[32:33], v[38:39]
	v_add_f64_e64 v[71:72], v[18:19], -v[54:55]
	v_add_f64_e64 v[69:70], v[44:45], -v[42:43]
	s_delay_alu instid0(VALU_DEP_4) | instskip(NEXT) | instid1(VALU_DEP_4)
	v_add_f64_e32 v[73:74], v[34:35], v[36:37]
	v_add_f64_e32 v[75:76], v[58:59], v[56:57]
	s_delay_alu instid0(VALU_DEP_4) | instskip(NEXT) | instid1(VALU_DEP_4)
	v_add_f64_e64 v[86:87], v[60:61], -v[71:72]
	v_add_f64_e64 v[84:85], v[69:70], -v[60:61]
	v_add_f64_e32 v[60:61], v[69:70], v[60:61]
	v_add_f64_e64 v[88:89], v[56:57], -v[73:74]
	v_add_f64_e32 v[75:76], v[73:74], v[75:76]
	v_add_f64_e64 v[73:74], v[73:74], -v[58:59]
	v_add_f64_e64 v[69:70], v[71:72], -v[69:70]
	v_mul_f64_e32 v[90:91], s[6:7], v[86:87]
	v_mul_f64_e32 v[84:85], s[12:13], v[84:85]
	v_add_f64_e32 v[60:61], v[60:61], v[71:72]
	v_mul_f64_e32 v[88:89], s[2:3], v[88:89]
	v_add_f64_e32 v[92:93], v[20:21], v[75:76]
	v_add_f64_e64 v[20:21], v[58:59], -v[56:57]
	v_mul_f64_e32 v[56:57], s[14:15], v[73:74]
	v_mul_f64_e32 v[58:59], v[24:25], v[98:99]
	;; [unrolled: 1-line block ×3, first 2 shown]
	v_fma_f64 v[24:25], v[24:25], v[96:97], v[94:95]
	v_mul_f64_e32 v[94:95], v[12:13], v[114:115]
	v_fma_f64 v[71:72], v[69:70], s[20:21], v[84:85]
	v_fma_f64 v[84:85], v[86:87], s[6:7], -v[84:85]
	v_fma_f64 v[73:74], v[73:74], s[14:15], v[88:89]
	v_fma_f64 v[75:76], v[75:76], s[24:25], v[92:93]
	s_wait_alu 0xfffe
	v_fma_f64 v[69:70], v[69:70], s[22:23], -v[90:91]
	v_fma_f64 v[86:87], v[20:21], s[18:19], -v[88:89]
	;; [unrolled: 1-line block ×3, first 2 shown]
	v_mul_f64_e32 v[88:89], v[26:27], v[102:103]
	v_mul_f64_e32 v[90:91], v[10:11], v[102:103]
	;; [unrolled: 1-line block ×5, first 2 shown]
	v_fma_f64 v[20:21], v[8:9], v[96:97], -v[58:59]
	v_mul_f64_e32 v[8:9], v[28:29], v[114:115]
	v_fma_f64 v[96:97], v[60:61], s[26:27], v[71:72]
	v_fma_f64 v[84:85], v[60:61], s[26:27], v[84:85]
	v_add_f64_e32 v[122:123], v[73:74], v[75:76]
	v_fma_f64 v[114:115], v[60:61], s[26:27], v[69:70]
	v_add_f64_e32 v[86:87], v[86:87], v[75:76]
	v_add_f64_e32 v[124:125], v[56:57], v[75:76]
	v_fma_f64 v[56:57], v[10:11], v[100:101], -v[88:89]
	v_fma_f64 v[60:61], v[26:27], v[100:101], v[90:91]
	v_fma_f64 v[26:27], v[0:1], v[104:105], -v[98:99]
	v_fma_f64 v[69:70], v[4:5], v[104:105], v[102:103]
	;; [unrolled: 2-line block ×4, first 2 shown]
	v_fma_f64 v[28:29], v[14:15], v[116:117], -v[120:121]
	s_wait_alu 0xf1ff
	v_cndmask_b32_e64 v12, 0, 0x9d8, s1
	v_lshlrev_b32_e32 v13, 3, v67
	s_delay_alu instid0(VALU_DEP_1)
	v_add3_u32 v67, 0, v12, v13
	v_add_f64_e32 v[0:1], v[96:97], v[122:123]
	v_add_f64_e64 v[10:11], v[122:123], -v[96:97]
	v_add_f64_e32 v[2:3], v[114:115], v[86:87]
	v_add_f64_e64 v[4:5], v[124:125], -v[84:85]
	;; [unrolled: 2-line block ×3, first 2 shown]
	ds_store_2addr_b64 v67, v[92:93], v[0:1] offset1:45
	ds_store_2addr_b64 v67, v[2:3], v[4:5] offset0:90 offset1:135
	ds_store_2addr_b64 v67, v[6:7], v[8:9] offset0:180 offset1:225
	ds_store_b64 v67, v[10:11] offset:2160
	s_and_saveexec_b32 s1, s0
	s_cbranch_execz .LBB0_33
; %bb.32:
	v_add_f64_e32 v[0:1], v[56:57], v[73:74]
	v_add_f64_e32 v[2:3], v[20:21], v[28:29]
	v_add_f64_e64 v[4:5], v[71:72], -v[69:70]
	v_add_f64_e64 v[6:7], v[60:61], -v[75:76]
	v_add_f64_e32 v[8:9], v[26:27], v[58:59]
	v_add_f64_e64 v[10:11], v[24:25], -v[30:31]
	v_add_f64_e32 v[12:13], v[0:1], v[2:3]
	s_delay_alu instid0(VALU_DEP_4) | instskip(NEXT) | instid1(VALU_DEP_4)
	v_add_f64_e64 v[14:15], v[4:5], -v[6:7]
	v_add_f64_e64 v[84:85], v[2:3], -v[8:9]
	s_delay_alu instid0(VALU_DEP_4)
	v_add_f64_e64 v[86:87], v[6:7], -v[10:11]
	v_add_f64_e32 v[6:7], v[4:5], v[6:7]
	v_add_f64_e64 v[4:5], v[10:11], -v[4:5]
	v_add_f64_e32 v[12:13], v[8:9], v[12:13]
	v_add_f64_e64 v[8:9], v[8:9], -v[0:1]
	v_add_f64_e64 v[0:1], v[0:1], -v[2:3]
	v_mul_f64_e32 v[2:3], s[12:13], v[14:15]
	v_mul_f64_e32 v[14:15], s[2:3], v[84:85]
	;; [unrolled: 1-line block ×3, first 2 shown]
	v_add_f64_e32 v[6:7], v[6:7], v[10:11]
	v_add_f64_e32 v[48:49], v[48:49], v[12:13]
	v_mul_f64_e32 v[88:89], s[14:15], v[8:9]
	v_fma_f64 v[10:11], v[4:5], s[20:21], v[2:3]
	v_fma_f64 v[8:9], v[8:9], s[14:15], v[14:15]
	v_fma_f64 v[90:91], v[0:1], s[18:19], -v[14:15]
	v_fma_f64 v[4:5], v[4:5], s[22:23], -v[84:85]
	;; [unrolled: 1-line block ×3, first 2 shown]
	v_fma_f64 v[12:13], v[12:13], s[24:25], v[48:49]
	v_fma_f64 v[0:1], v[0:1], s[16:17], -v[88:89]
	v_fma_f64 v[10:11], v[6:7], s[26:27], v[10:11]
	v_fma_f64 v[4:5], v[6:7], s[26:27], v[4:5]
	;; [unrolled: 1-line block ×3, first 2 shown]
	v_add_f64_e32 v[8:9], v[8:9], v[12:13]
	v_add_f64_e32 v[6:7], v[90:91], v[12:13]
	;; [unrolled: 1-line block ×3, first 2 shown]
	s_delay_alu instid0(VALU_DEP_3) | instskip(NEXT) | instid1(VALU_DEP_3)
	v_add_f64_e32 v[84:85], v[10:11], v[8:9]
	v_add_f64_e64 v[12:13], v[6:7], -v[4:5]
	s_delay_alu instid0(VALU_DEP_3)
	v_add_f64_e64 v[14:15], v[0:1], -v[2:3]
	v_add_f64_e32 v[4:5], v[4:5], v[6:7]
	v_add_f64_e32 v[0:1], v[2:3], v[0:1]
	v_add_f64_e64 v[2:3], v[8:9], -v[10:11]
	v_add_nc_u32_e32 v6, 0x800, v63
	v_add_nc_u32_e32 v7, 0xc00, v63
	ds_store_2addr_b64 v6, v[48:49], v[84:85] offset0:59 offset1:104
	ds_store_2addr_b64 v6, v[4:5], v[14:15] offset0:149 offset1:194
	;; [unrolled: 1-line block ×3, first 2 shown]
	ds_store_b64 v63, v[2:3] offset:4680
.LBB0_33:
	s_wait_alu 0xfffe
	s_or_b32 exec_lo, exec_lo, s1
	v_add_f64_e32 v[0:1], v[18:19], v[54:55]
	v_add_f64_e32 v[2:3], v[40:41], v[46:47]
	v_add_f64_e64 v[4:5], v[32:33], -v[38:39]
	v_add_f64_e32 v[6:7], v[42:43], v[44:45]
	v_add_f64_e64 v[8:9], v[36:37], -v[34:35]
	v_add_f64_e64 v[10:11], v[22:23], -v[52:53]
	global_wb scope:SCOPE_SE
	s_wait_dscnt 0x0
	s_barrier_signal -1
	s_barrier_wait -1
	global_inv scope:SCOPE_SE
	v_add_f64_e32 v[12:13], v[2:3], v[0:1]
	v_add_f64_e64 v[14:15], v[0:1], -v[6:7]
	v_add_f64_e64 v[18:19], v[8:9], -v[4:5]
	;; [unrolled: 1-line block ×3, first 2 shown]
	v_add_f64_e32 v[4:5], v[8:9], v[4:5]
	v_add_f64_e64 v[8:9], v[10:11], -v[8:9]
	v_add_f64_e64 v[0:1], v[2:3], -v[0:1]
	v_add_f64_e32 v[12:13], v[6:7], v[12:13]
	v_add_f64_e64 v[6:7], v[6:7], -v[2:3]
	v_mul_f64_e32 v[14:15], s[2:3], v[14:15]
	v_mul_f64_e32 v[18:19], s[12:13], v[18:19]
	;; [unrolled: 1-line block ×3, first 2 shown]
	v_add_f64_e32 v[4:5], v[4:5], v[10:11]
	v_add_f64_e32 v[34:35], v[16:17], v[12:13]
	v_mul_f64_e32 v[2:3], s[14:15], v[6:7]
	v_fma_f64 v[6:7], v[6:7], s[14:15], v[14:15]
	v_fma_f64 v[10:11], v[8:9], s[20:21], v[18:19]
	v_fma_f64 v[16:17], v[22:23], s[6:7], -v[18:19]
	v_fma_f64 v[8:9], v[8:9], s[22:23], -v[32:33]
	;; [unrolled: 1-line block ×3, first 2 shown]
	v_fma_f64 v[12:13], v[12:13], s[24:25], v[34:35]
	v_fma_f64 v[0:1], v[0:1], s[16:17], -v[2:3]
	v_fma_f64 v[2:3], v[4:5], s[26:27], v[10:11]
	v_fma_f64 v[10:11], v[4:5], s[26:27], v[16:17]
	;; [unrolled: 1-line block ×3, first 2 shown]
	v_add_f64_e32 v[6:7], v[6:7], v[12:13]
	v_add_f64_e32 v[8:9], v[14:15], v[12:13]
	;; [unrolled: 1-line block ×3, first 2 shown]
	ds_load_b64 v[12:13], v79
	v_add_f64_e64 v[22:23], v[6:7], -v[2:3]
	v_add_f64_e64 v[32:33], v[8:9], -v[4:5]
	v_add_f64_e32 v[36:37], v[10:11], v[0:1]
	v_add_f64_e64 v[38:39], v[0:1], -v[10:11]
	v_add_f64_e32 v[40:41], v[4:5], v[8:9]
	v_add_f64_e32 v[42:43], v[2:3], v[6:7]
	v_add_nc_u32_e32 v4, 0x800, v79
	ds_load_b64 v[14:15], v82
	ds_load_2addr_b64 v[0:3], v83 offset0:189 offset1:252
	ds_load_b64 v[16:17], v81
	ds_load_b64 v[18:19], v79 offset:4536
	ds_load_2addr_b64 v[8:11], v4 offset0:59 offset1:122
	ds_load_2addr_b64 v[4:7], v4 offset0:185 offset1:248
	global_wb scope:SCOPE_SE
	s_wait_dscnt 0x0
	s_barrier_signal -1
	s_barrier_wait -1
	global_inv scope:SCOPE_SE
	ds_store_2addr_b64 v67, v[34:35], v[22:23] offset1:45
	ds_store_2addr_b64 v67, v[32:33], v[36:37] offset0:90 offset1:135
	ds_store_2addr_b64 v67, v[38:39], v[40:41] offset0:180 offset1:225
	ds_store_b64 v67, v[42:43] offset:2160
	s_and_saveexec_b32 s1, s0
	s_cbranch_execz .LBB0_35
; %bb.34:
	v_add_f64_e32 v[22:23], v[24:25], v[30:31]
	v_add_f64_e32 v[24:25], v[60:61], v[75:76]
	;; [unrolled: 1-line block ×3, first 2 shown]
	v_add_f64_e64 v[32:33], v[56:57], -v[73:74]
	v_add_f64_e64 v[26:27], v[58:59], -v[26:27]
	;; [unrolled: 1-line block ×3, first 2 shown]
	s_mov_b32 s6, 0x36b3c0b5
	s_mov_b32 s7, 0x3fac98ee
	;; [unrolled: 1-line block ×6, first 2 shown]
	v_add_f64_e32 v[28:29], v[24:25], v[22:23]
	v_add_f64_e64 v[34:35], v[22:23], -v[30:31]
	v_add_f64_e64 v[36:37], v[30:31], -v[24:25]
	;; [unrolled: 1-line block ×5, first 2 shown]
	v_add_f64_e32 v[24:25], v[26:27], v[32:33]
	v_add_f64_e64 v[26:27], v[20:21], -v[26:27]
	v_add_f64_e32 v[28:29], v[30:31], v[28:29]
	v_mul_f64_e32 v[30:31], s[2:3], v[34:35]
	s_mov_b32 s2, 0x429ad128
	s_wait_alu 0xfffe
	v_mul_f64_e32 v[32:33], s[6:7], v[36:37]
	v_mul_f64_e32 v[34:35], s[12:13], v[38:39]
	s_mov_b32 s3, 0x3febfeb5
	s_mov_b32 s12, 0xaaaaaaaa
	s_wait_alu 0xfffe
	v_mul_f64_e32 v[38:39], s[2:3], v[40:41]
	s_mov_b32 s13, 0xbff2aaaa
	v_add_f64_e32 v[20:21], v[24:25], v[20:21]
	v_add_f64_e32 v[42:43], v[50:51], v[28:29]
	v_fma_f64 v[24:25], v[36:37], s[6:7], v[30:31]
	v_fma_f64 v[32:33], v[22:23], s[14:15], -v[32:33]
	s_mov_b32 s15, 0xbfe77f67
	v_fma_f64 v[36:37], v[26:27], s[16:17], v[34:35]
	s_mov_b32 s17, 0xbfd5d0dc
	v_fma_f64 v[34:35], v[40:41], s[2:3], -v[34:35]
	s_wait_alu 0xfffe
	v_fma_f64 v[26:27], v[26:27], s[16:17], -v[38:39]
	v_fma_f64 v[22:23], v[22:23], s[14:15], -v[30:31]
	s_mov_b32 s2, 0x37c3f68c
	s_mov_b32 s3, 0x3fdc38aa
	v_fma_f64 v[28:29], v[28:29], s[12:13], v[42:43]
	s_wait_alu 0xfffe
	v_fma_f64 v[30:31], v[20:21], s[2:3], v[36:37]
	v_fma_f64 v[34:35], v[20:21], s[2:3], v[34:35]
	;; [unrolled: 1-line block ×3, first 2 shown]
	s_delay_alu instid0(VALU_DEP_4) | instskip(SKIP_2) | instid1(VALU_DEP_3)
	v_add_f64_e32 v[24:25], v[24:25], v[28:29]
	v_add_f64_e32 v[22:23], v[22:23], v[28:29]
	;; [unrolled: 1-line block ×3, first 2 shown]
	v_add_f64_e64 v[28:29], v[24:25], -v[30:31]
	s_delay_alu instid0(VALU_DEP_3) | instskip(NEXT) | instid1(VALU_DEP_3)
	v_add_f64_e64 v[32:33], v[22:23], -v[20:21]
	v_add_f64_e32 v[36:37], v[34:35], v[26:27]
	v_add_f64_e64 v[26:27], v[26:27], -v[34:35]
	v_add_f64_e32 v[20:21], v[20:21], v[22:23]
	v_add_f64_e32 v[22:23], v[30:31], v[24:25]
	v_add_nc_u32_e32 v24, 0x800, v63
	v_add_nc_u32_e32 v25, 0xc00, v63
	ds_store_2addr_b64 v24, v[42:43], v[28:29] offset0:59 offset1:104
	ds_store_2addr_b64 v24, v[32:33], v[36:37] offset0:149 offset1:194
	;; [unrolled: 1-line block ×3, first 2 shown]
	ds_store_b64 v63, v[22:23] offset:4680
.LBB0_35:
	s_wait_alu 0xfffe
	s_or_b32 exec_lo, exec_lo, s1
	global_wb scope:SCOPE_SE
	s_wait_dscnt 0x0
	s_barrier_signal -1
	s_barrier_wait -1
	global_inv scope:SCOPE_SE
	s_and_saveexec_b32 s0, vcc_lo
	s_cbranch_execz .LBB0_37
; %bb.36:
	v_dual_mov_b32 v63, 0 :: v_dual_add_nc_u32 v48, 0x800, v79
	v_add_nc_u32_e32 v95, 0x13b, v62
	v_mad_co_u64_u32 v[60:61], null, s8, v62, 0
	s_delay_alu instid0(VALU_DEP_3) | instskip(SKIP_3) | instid1(VALU_DEP_4)
	v_lshlrev_b64_e32 v[20:21], 4, v[62:63]
	v_dual_mov_b32 v67, v63 :: v_dual_add_nc_u32 v98, 0x1f8, v62
	v_dual_mov_b32 v69, v63 :: v_dual_add_nc_u32 v96, 0x17a, v62
	v_mad_co_u64_u32 v[75:76], null, s8, v78, 0
	v_add_co_u32 v28, vcc_lo, s4, v20
	s_wait_alu 0xfffd
	v_add_co_ci_u32_e32 v29, vcc_lo, s5, v21, vcc_lo
	v_lshlrev_b64_e32 v[24:25], 4, v[66:67]
	v_lshlrev_b64_e32 v[26:27], 4, v[68:69]
	v_mad_co_u64_u32 v[85:86], null, s8, v96, 0
	global_load_b128 v[20:23], v[28:29], off offset:9024
	v_add_nc_u32_e32 v97, 0x1b9, v62
	v_add_co_u32 v32, vcc_lo, s4, v24
	s_wait_alu 0xfffd
	v_add_co_ci_u32_e32 v33, vcc_lo, s5, v25, vcc_lo
	v_add_co_u32 v36, vcc_lo, s4, v26
	s_wait_alu 0xfffd
	v_add_co_ci_u32_e32 v37, vcc_lo, s5, v27, vcc_lo
	s_clause 0x3
	global_load_b128 v[24:27], v[28:29], off offset:8016
	global_load_b128 v[28:31], v[28:29], off offset:4992
	;; [unrolled: 1-line block ×4, first 2 shown]
	ds_load_b64 v[52:53], v79 offset:4536
	ds_load_2addr_b64 v[40:43], v48 offset0:59 offset1:122
	ds_load_2addr_b64 v[44:47], v83 offset0:189 offset1:252
	ds_load_b64 v[54:55], v82
	ds_load_b64 v[56:57], v81
	ds_load_2addr_b64 v[48:51], v48 offset0:185 offset1:248
	ds_load_b64 v[58:59], v79
	v_add_co_u32 v93, vcc_lo, s10, v64
	s_wait_alu 0xfffd
	v_add_co_ci_u32_e32 v94, vcc_lo, s11, v65, vcc_lo
	v_mad_co_u64_u32 v[63:64], null, s8, v77, 0
	v_mad_co_u64_u32 v[83:84], null, s8, v95, 0
	;; [unrolled: 1-line block ×4, first 2 shown]
	s_delay_alu instid0(VALU_DEP_2)
	v_mov_b32_e32 v79, v82
	s_wait_loadcnt 0x4
	v_mul_f64_e32 v[65:66], v[18:19], v[22:23]
	s_wait_dscnt 0x6
	v_mul_f64_e32 v[22:23], v[52:53], v[22:23]
	s_wait_loadcnt 0x3
	v_mul_f64_e32 v[67:68], v[6:7], v[26:27]
	s_wait_loadcnt 0x2
	v_mul_f64_e32 v[69:70], v[8:9], v[30:31]
	s_wait_dscnt 0x5
	v_mul_f64_e32 v[30:31], v[40:41], v[30:31]
	s_wait_loadcnt 0x1
	v_mul_f64_e32 v[71:72], v[10:11], v[34:35]
	v_mul_f64_e32 v[34:35], v[42:43], v[34:35]
	s_wait_loadcnt 0x0
	v_mul_f64_e32 v[73:74], v[4:5], v[38:39]
	s_wait_dscnt 0x1
	v_mul_f64_e32 v[38:39], v[48:49], v[38:39]
	v_mul_f64_e32 v[26:27], v[50:51], v[26:27]
	v_mad_co_u64_u32 v[91:92], null, s9, v77, v[64:65]
	v_fma_f64 v[52:53], v[52:53], v[20:21], v[65:66]
	v_fma_f64 v[65:66], v[18:19], v[20:21], -v[22:23]
	v_dual_mov_b32 v64, v86 :: v_dual_add_nc_u32 v99, 0xfc, v62
	v_mad_co_u64_u32 v[87:88], null, s8, v97, 0
	v_fma_f64 v[18:19], v[40:41], v[28:29], v[69:70]
	v_fma_f64 v[8:9], v[8:9], v[28:29], -v[30:31]
	v_fma_f64 v[20:21], v[42:43], v[32:33], v[71:72]
	v_fma_f64 v[22:23], v[10:11], v[32:33], -v[34:35]
	;; [unrolled: 2-line block ×4, first 2 shown]
	v_mad_co_u64_u32 v[61:62], null, s9, v62, v[61:62]
	v_mov_b32_e32 v62, v84
	v_mad_co_u64_u32 v[76:77], null, s9, v78, v[76:77]
	v_mad_co_u64_u32 v[6:7], null, s9, v80, v[79:80]
	s_delay_alu instid0(VALU_DEP_3) | instskip(SKIP_1) | instid1(VALU_DEP_4)
	v_mad_co_u64_u32 v[10:11], null, s9, v95, v[62:63]
	v_mov_b32_e32 v7, v90
	v_lshlrev_b64_e32 v[38:39], 4, v[75:76]
	s_delay_alu instid0(VALU_DEP_4) | instskip(NEXT) | instid1(VALU_DEP_4)
	v_mov_b32_e32 v82, v6
	v_mov_b32_e32 v84, v10
	s_delay_alu instid0(VALU_DEP_2) | instskip(NEXT) | instid1(VALU_DEP_2)
	v_lshlrev_b64_e32 v[40:41], 4, v[81:82]
	v_lshlrev_b64_e32 v[48:49], 4, v[83:84]
	v_mad_co_u64_u32 v[24:25], null, s9, v96, v[64:65]
	v_mov_b32_e32 v64, v91
	v_mul_hi_u32 v100, 0xa01a01a1, v99
	v_mov_b32_e32 v77, v88
	s_wait_dscnt 0x0
	v_add_f64_e64 v[10:11], v[58:59], -v[18:19]
	v_add_f64_e64 v[20:21], v[56:57], -v[20:21]
	;; [unrolled: 1-line block ×3, first 2 shown]
	v_mad_co_u64_u32 v[32:33], null, s9, v97, v[77:78]
	v_sub_nc_u32_e32 v35, v99, v100
	v_mad_co_u64_u32 v[33:34], null, s9, v98, v[7:8]
	v_add_f64_e64 v[8:9], v[12:13], -v[8:9]
	v_mov_b32_e32 v86, v24
	s_delay_alu instid0(VALU_DEP_4)
	v_lshrrev_b32_e32 v7, 1, v35
	v_add_f64_e64 v[24:25], v[54:55], -v[28:29]
	v_add_f64_e64 v[22:23], v[14:15], -v[4:5]
	;; [unrolled: 1-line block ×4, first 2 shown]
	v_add_nc_u32_e32 v6, v7, v100
	v_mov_b32_e32 v88, v32
	v_add_f64_e64 v[4:5], v[2:3], -v[65:66]
	v_lshlrev_b64_e32 v[34:35], 4, v[60:61]
	v_lshlrev_b64_e32 v[36:37], 4, v[63:64]
	v_lshrrev_b32_e32 v32, 8, v6
	v_add_f64_e64 v[6:7], v[46:47], -v[52:53]
	s_delay_alu instid0(VALU_DEP_4) | instskip(NEXT) | instid1(VALU_DEP_3)
	v_add_co_u32 v62, vcc_lo, v93, v34
	v_mad_u32_u24 v31, 0x13b, v32, v99
	s_wait_alu 0xfffd
	v_add_co_ci_u32_e32 v63, vcc_lo, v94, v35, vcc_lo
	v_add_co_u32 v64, vcc_lo, v93, v36
	s_delay_alu instid0(VALU_DEP_3) | instskip(SKIP_3) | instid1(VALU_DEP_3)
	v_add_nc_u32_e32 v76, 0x13b, v31
	v_mad_co_u64_u32 v[66:67], null, s8, v31, 0
	s_wait_alu 0xfffd
	v_add_co_ci_u32_e32 v65, vcc_lo, v94, v37, vcc_lo
	v_mad_co_u64_u32 v[70:71], null, s8, v76, 0
	v_add_co_u32 v68, vcc_lo, v93, v38
	s_wait_alu 0xfffd
	v_add_co_ci_u32_e32 v69, vcc_lo, v94, v39, vcc_lo
	v_add_co_u32 v72, vcc_lo, v93, v40
	v_fma_f64 v[36:37], v[58:59], 2.0, -v[10:11]
	s_wait_alu 0xfffd
	v_add_co_ci_u32_e32 v73, vcc_lo, v94, v41, vcc_lo
	v_fma_f64 v[34:35], v[12:13], 2.0, -v[8:9]
	v_fma_f64 v[40:41], v[56:57], 2.0, -v[20:21]
	v_fma_f64 v[38:39], v[16:17], 2.0, -v[18:19]
	v_dual_mov_b32 v30, v67 :: v_dual_mov_b32 v67, v71
	v_fma_f64 v[16:17], v[54:55], 2.0, -v[24:25]
	v_fma_f64 v[14:15], v[14:15], 2.0, -v[22:23]
	;; [unrolled: 1-line block ×4, first 2 shown]
	v_mad_co_u64_u32 v[74:75], null, s9, v31, v[30:31]
	v_fma_f64 v[30:31], v[2:3], 2.0, -v[4:5]
	v_mad_co_u64_u32 v[2:3], null, s9, v76, v[67:68]
	v_mov_b32_e32 v90, v33
	v_fma_f64 v[32:33], v[46:47], 2.0, -v[6:7]
	v_lshlrev_b64_e32 v[50:51], 4, v[85:86]
	v_add_co_u32 v0, vcc_lo, v93, v48
	v_mov_b32_e32 v67, v74
	v_mov_b32_e32 v71, v2
	v_lshlrev_b64_e32 v[52:53], 4, v[87:88]
	s_wait_alu 0xfffd
	v_add_co_ci_u32_e32 v1, vcc_lo, v94, v49, vcc_lo
	v_lshlrev_b64_e32 v[60:61], 4, v[89:90]
	v_add_co_u32 v12, vcc_lo, v93, v50
	s_wait_alu 0xfffd
	v_add_co_ci_u32_e32 v13, vcc_lo, v94, v51, vcc_lo
	v_add_co_u32 v46, vcc_lo, v93, v52
	v_lshlrev_b64_e32 v[48:49], 4, v[66:67]
	s_wait_alu 0xfffd
	v_add_co_ci_u32_e32 v47, vcc_lo, v94, v53, vcc_lo
	v_add_co_u32 v2, vcc_lo, v93, v60
	v_lshlrev_b64_e32 v[50:51], 4, v[70:71]
	s_wait_alu 0xfffd
	v_add_co_ci_u32_e32 v3, vcc_lo, v94, v61, vcc_lo
	v_add_co_u32 v48, vcc_lo, v93, v48
	s_wait_alu 0xfffd
	v_add_co_ci_u32_e32 v49, vcc_lo, v94, v49, vcc_lo
	v_add_co_u32 v50, vcc_lo, v93, v50
	s_wait_alu 0xfffd
	v_add_co_ci_u32_e32 v51, vcc_lo, v94, v51, vcc_lo
	s_clause 0x9
	global_store_b128 v[62:63], v[34:37], off
	global_store_b128 v[0:1], v[8:11], off
	global_store_b128 v[64:65], v[38:41], off
	global_store_b128 v[12:13], v[18:21], off
	global_store_b128 v[68:69], v[14:17], off
	global_store_b128 v[46:47], v[22:25], off
	global_store_b128 v[72:73], v[42:45], off
	global_store_b128 v[2:3], v[26:29], off
	global_store_b128 v[48:49], v[30:33], off
	global_store_b128 v[50:51], v[4:7], off
.LBB0_37:
	s_nop 0
	s_sendmsg sendmsg(MSG_DEALLOC_VGPRS)
	s_endpgm
	.section	.rodata,"a",@progbits
	.p2align	6, 0x0
	.amdhsa_kernel fft_rtc_fwd_len630_factors_3_3_5_7_2_wgs_63_tpt_63_halfLds_dp_ip_CI_sbrr_dirReg
		.amdhsa_group_segment_fixed_size 0
		.amdhsa_private_segment_fixed_size 0
		.amdhsa_kernarg_size 88
		.amdhsa_user_sgpr_count 2
		.amdhsa_user_sgpr_dispatch_ptr 0
		.amdhsa_user_sgpr_queue_ptr 0
		.amdhsa_user_sgpr_kernarg_segment_ptr 1
		.amdhsa_user_sgpr_dispatch_id 0
		.amdhsa_user_sgpr_private_segment_size 0
		.amdhsa_wavefront_size32 1
		.amdhsa_uses_dynamic_stack 0
		.amdhsa_enable_private_segment 0
		.amdhsa_system_sgpr_workgroup_id_x 1
		.amdhsa_system_sgpr_workgroup_id_y 0
		.amdhsa_system_sgpr_workgroup_id_z 0
		.amdhsa_system_sgpr_workgroup_info 0
		.amdhsa_system_vgpr_workitem_id 0
		.amdhsa_next_free_vgpr 126
		.amdhsa_next_free_sgpr 35
		.amdhsa_reserve_vcc 1
		.amdhsa_float_round_mode_32 0
		.amdhsa_float_round_mode_16_64 0
		.amdhsa_float_denorm_mode_32 3
		.amdhsa_float_denorm_mode_16_64 3
		.amdhsa_fp16_overflow 0
		.amdhsa_workgroup_processor_mode 1
		.amdhsa_memory_ordered 1
		.amdhsa_forward_progress 0
		.amdhsa_round_robin_scheduling 0
		.amdhsa_exception_fp_ieee_invalid_op 0
		.amdhsa_exception_fp_denorm_src 0
		.amdhsa_exception_fp_ieee_div_zero 0
		.amdhsa_exception_fp_ieee_overflow 0
		.amdhsa_exception_fp_ieee_underflow 0
		.amdhsa_exception_fp_ieee_inexact 0
		.amdhsa_exception_int_div_zero 0
	.end_amdhsa_kernel
	.text
.Lfunc_end0:
	.size	fft_rtc_fwd_len630_factors_3_3_5_7_2_wgs_63_tpt_63_halfLds_dp_ip_CI_sbrr_dirReg, .Lfunc_end0-fft_rtc_fwd_len630_factors_3_3_5_7_2_wgs_63_tpt_63_halfLds_dp_ip_CI_sbrr_dirReg
                                        ; -- End function
	.section	.AMDGPU.csdata,"",@progbits
; Kernel info:
; codeLenInByte = 10052
; NumSgprs: 37
; NumVgprs: 126
; ScratchSize: 0
; MemoryBound: 1
; FloatMode: 240
; IeeeMode: 1
; LDSByteSize: 0 bytes/workgroup (compile time only)
; SGPRBlocks: 4
; VGPRBlocks: 15
; NumSGPRsForWavesPerEU: 37
; NumVGPRsForWavesPerEU: 126
; Occupancy: 10
; WaveLimiterHint : 1
; COMPUTE_PGM_RSRC2:SCRATCH_EN: 0
; COMPUTE_PGM_RSRC2:USER_SGPR: 2
; COMPUTE_PGM_RSRC2:TRAP_HANDLER: 0
; COMPUTE_PGM_RSRC2:TGID_X_EN: 1
; COMPUTE_PGM_RSRC2:TGID_Y_EN: 0
; COMPUTE_PGM_RSRC2:TGID_Z_EN: 0
; COMPUTE_PGM_RSRC2:TIDIG_COMP_CNT: 0
	.text
	.p2alignl 7, 3214868480
	.fill 96, 4, 3214868480
	.type	__hip_cuid_2a153f2f6d2b454e,@object ; @__hip_cuid_2a153f2f6d2b454e
	.section	.bss,"aw",@nobits
	.globl	__hip_cuid_2a153f2f6d2b454e
__hip_cuid_2a153f2f6d2b454e:
	.byte	0                               ; 0x0
	.size	__hip_cuid_2a153f2f6d2b454e, 1

	.ident	"AMD clang version 19.0.0git (https://github.com/RadeonOpenCompute/llvm-project roc-6.4.0 25133 c7fe45cf4b819c5991fe208aaa96edf142730f1d)"
	.section	".note.GNU-stack","",@progbits
	.addrsig
	.addrsig_sym __hip_cuid_2a153f2f6d2b454e
	.amdgpu_metadata
---
amdhsa.kernels:
  - .args:
      - .actual_access:  read_only
        .address_space:  global
        .offset:         0
        .size:           8
        .value_kind:     global_buffer
      - .offset:         8
        .size:           8
        .value_kind:     by_value
      - .actual_access:  read_only
        .address_space:  global
        .offset:         16
        .size:           8
        .value_kind:     global_buffer
      - .actual_access:  read_only
        .address_space:  global
        .offset:         24
        .size:           8
        .value_kind:     global_buffer
      - .offset:         32
        .size:           8
        .value_kind:     by_value
      - .actual_access:  read_only
        .address_space:  global
        .offset:         40
        .size:           8
        .value_kind:     global_buffer
      - .actual_access:  read_only
        .address_space:  global
        .offset:         48
        .size:           8
        .value_kind:     global_buffer
      - .offset:         56
        .size:           4
        .value_kind:     by_value
      - .actual_access:  read_only
        .address_space:  global
        .offset:         64
        .size:           8
        .value_kind:     global_buffer
      - .actual_access:  read_only
        .address_space:  global
        .offset:         72
        .size:           8
        .value_kind:     global_buffer
      - .address_space:  global
        .offset:         80
        .size:           8
        .value_kind:     global_buffer
    .group_segment_fixed_size: 0
    .kernarg_segment_align: 8
    .kernarg_segment_size: 88
    .language:       OpenCL C
    .language_version:
      - 2
      - 0
    .max_flat_workgroup_size: 63
    .name:           fft_rtc_fwd_len630_factors_3_3_5_7_2_wgs_63_tpt_63_halfLds_dp_ip_CI_sbrr_dirReg
    .private_segment_fixed_size: 0
    .sgpr_count:     37
    .sgpr_spill_count: 0
    .symbol:         fft_rtc_fwd_len630_factors_3_3_5_7_2_wgs_63_tpt_63_halfLds_dp_ip_CI_sbrr_dirReg.kd
    .uniform_work_group_size: 1
    .uses_dynamic_stack: false
    .vgpr_count:     126
    .vgpr_spill_count: 0
    .wavefront_size: 32
    .workgroup_processor_mode: 1
amdhsa.target:   amdgcn-amd-amdhsa--gfx1201
amdhsa.version:
  - 1
  - 2
...

	.end_amdgpu_metadata
